;; amdgpu-corpus repo=ROCm/rocFFT kind=compiled arch=gfx950 opt=O3
	.text
	.amdgcn_target "amdgcn-amd-amdhsa--gfx950"
	.amdhsa_code_object_version 6
	.protected	fft_rtc_back_len408_factors_17_3_8_wgs_51_tpt_17_halfLds_dp_op_CI_CI_unitstride_sbrr_dirReg ; -- Begin function fft_rtc_back_len408_factors_17_3_8_wgs_51_tpt_17_halfLds_dp_op_CI_CI_unitstride_sbrr_dirReg
	.globl	fft_rtc_back_len408_factors_17_3_8_wgs_51_tpt_17_halfLds_dp_op_CI_CI_unitstride_sbrr_dirReg
	.p2align	8
	.type	fft_rtc_back_len408_factors_17_3_8_wgs_51_tpt_17_halfLds_dp_op_CI_CI_unitstride_sbrr_dirReg,@function
fft_rtc_back_len408_factors_17_3_8_wgs_51_tpt_17_halfLds_dp_op_CI_CI_unitstride_sbrr_dirReg: ; @fft_rtc_back_len408_factors_17_3_8_wgs_51_tpt_17_halfLds_dp_op_CI_CI_unitstride_sbrr_dirReg
; %bb.0:
	s_load_dwordx4 s[4:7], s[0:1], 0x58
	s_load_dwordx4 s[8:11], s[0:1], 0x0
	;; [unrolled: 1-line block ×3, first 2 shown]
	v_mul_u32_u24_e32 v1, 0xf10, v0
	v_lshrrev_b32_e32 v2, 16, v1
	v_mad_u64_u32 v[140:141], s[2:3], s2, 3, v[2:3]
	v_mov_b32_e32 v2, 0
	v_mov_b32_e32 v141, v2
	s_waitcnt lgkmcnt(0)
	v_cmp_lt_u64_e64 s[2:3], s[10:11], 2
	v_mov_b64_e32 v[4:5], 0
	s_and_b64 vcc, exec, s[2:3]
	v_mov_b64_e32 v[136:137], v[4:5]
	v_mov_b64_e32 v[138:139], v[140:141]
	s_cbranch_vccnz .LBB0_8
; %bb.1:
	s_load_dwordx2 s[2:3], s[0:1], 0x10
	s_add_u32 s16, s14, 8
	s_addc_u32 s17, s15, 0
	s_add_u32 s18, s12, 8
	s_addc_u32 s19, s13, 0
	s_waitcnt lgkmcnt(0)
	s_add_u32 s20, s2, 8
	v_mov_b64_e32 v[4:5], 0
	s_addc_u32 s21, s3, 0
	s_mov_b64 s[22:23], 1
	v_mov_b64_e32 v[136:137], v[4:5]
	v_mov_b64_e32 v[6:7], v[140:141]
.LBB0_2:                                ; =>This Inner Loop Header: Depth=1
	s_load_dwordx2 s[24:25], s[20:21], 0x0
                                        ; implicit-def: $vgpr138_vgpr139
	s_waitcnt lgkmcnt(0)
	v_or_b32_e32 v3, s25, v7
	v_cmp_ne_u64_e32 vcc, 0, v[2:3]
	s_and_saveexec_b64 s[2:3], vcc
	s_xor_b64 s[26:27], exec, s[2:3]
	s_cbranch_execz .LBB0_4
; %bb.3:                                ;   in Loop: Header=BB0_2 Depth=1
	v_cvt_f32_u32_e32 v1, s24
	v_cvt_f32_u32_e32 v3, s25
	s_sub_u32 s2, 0, s24
	s_subb_u32 s3, 0, s25
	v_fmac_f32_e32 v1, 0x4f800000, v3
	v_rcp_f32_e32 v1, v1
	s_nop 0
	v_mul_f32_e32 v1, 0x5f7ffffc, v1
	v_mul_f32_e32 v3, 0x2f800000, v1
	v_trunc_f32_e32 v3, v3
	v_fmac_f32_e32 v1, 0xcf800000, v3
	v_cvt_u32_f32_e32 v3, v3
	v_cvt_u32_f32_e32 v1, v1
	v_mul_lo_u32 v8, s2, v3
	v_mul_hi_u32 v10, s2, v1
	v_mul_lo_u32 v9, s3, v1
	v_add_u32_e32 v10, v10, v8
	v_mul_lo_u32 v12, s2, v1
	v_add_u32_e32 v13, v10, v9
	v_mul_hi_u32 v8, v1, v12
	v_mul_hi_u32 v11, v1, v13
	v_mul_lo_u32 v10, v1, v13
	v_mov_b32_e32 v9, v2
	v_lshl_add_u64 v[8:9], v[8:9], 0, v[10:11]
	v_mul_hi_u32 v11, v3, v12
	v_mul_lo_u32 v12, v3, v12
	v_add_co_u32_e32 v8, vcc, v8, v12
	v_mul_hi_u32 v10, v3, v13
	s_nop 0
	v_addc_co_u32_e32 v8, vcc, v9, v11, vcc
	v_mov_b32_e32 v9, v2
	s_nop 0
	v_addc_co_u32_e32 v11, vcc, 0, v10, vcc
	v_mul_lo_u32 v10, v3, v13
	v_lshl_add_u64 v[8:9], v[8:9], 0, v[10:11]
	v_add_co_u32_e32 v1, vcc, v1, v8
	v_mul_lo_u32 v10, s2, v1
	s_nop 0
	v_addc_co_u32_e32 v3, vcc, v3, v9, vcc
	v_mul_lo_u32 v8, s2, v3
	v_mul_hi_u32 v9, s2, v1
	v_add_u32_e32 v8, v9, v8
	v_mul_lo_u32 v9, s3, v1
	v_add_u32_e32 v12, v8, v9
	v_mul_hi_u32 v14, v3, v10
	v_mul_lo_u32 v15, v3, v10
	v_mul_hi_u32 v9, v1, v12
	v_mul_lo_u32 v8, v1, v12
	v_mul_hi_u32 v10, v1, v10
	v_mov_b32_e32 v11, v2
	v_lshl_add_u64 v[8:9], v[10:11], 0, v[8:9]
	v_add_co_u32_e32 v8, vcc, v8, v15
	v_mul_hi_u32 v13, v3, v12
	s_nop 0
	v_addc_co_u32_e32 v8, vcc, v9, v14, vcc
	v_mul_lo_u32 v10, v3, v12
	s_nop 0
	v_addc_co_u32_e32 v11, vcc, 0, v13, vcc
	v_mov_b32_e32 v9, v2
	v_lshl_add_u64 v[8:9], v[8:9], 0, v[10:11]
	v_add_co_u32_e32 v1, vcc, v1, v8
	v_mul_hi_u32 v10, v6, v1
	s_nop 0
	v_addc_co_u32_e32 v3, vcc, v3, v9, vcc
	v_mad_u64_u32 v[8:9], s[2:3], v6, v3, 0
	v_mov_b32_e32 v11, v2
	v_lshl_add_u64 v[8:9], v[10:11], 0, v[8:9]
	v_mad_u64_u32 v[12:13], s[2:3], v7, v1, 0
	v_add_co_u32_e32 v1, vcc, v8, v12
	v_mad_u64_u32 v[10:11], s[2:3], v7, v3, 0
	s_nop 0
	v_addc_co_u32_e32 v8, vcc, v9, v13, vcc
	v_mov_b32_e32 v9, v2
	s_nop 0
	v_addc_co_u32_e32 v11, vcc, 0, v11, vcc
	v_lshl_add_u64 v[8:9], v[8:9], 0, v[10:11]
	v_mul_lo_u32 v1, s25, v8
	v_mul_lo_u32 v3, s24, v9
	v_mad_u64_u32 v[10:11], s[2:3], s24, v8, 0
	v_add3_u32 v1, v11, v3, v1
	v_sub_u32_e32 v3, v7, v1
	v_mov_b32_e32 v11, s25
	v_sub_co_u32_e32 v14, vcc, v6, v10
	v_lshl_add_u64 v[12:13], v[8:9], 0, 1
	s_nop 0
	v_subb_co_u32_e64 v3, s[2:3], v3, v11, vcc
	v_subrev_co_u32_e64 v10, s[2:3], s24, v14
	v_subb_co_u32_e32 v1, vcc, v7, v1, vcc
	s_nop 0
	v_subbrev_co_u32_e64 v3, s[2:3], 0, v3, s[2:3]
	v_cmp_le_u32_e64 s[2:3], s25, v3
	v_cmp_le_u32_e32 vcc, s25, v1
	s_nop 0
	v_cndmask_b32_e64 v11, 0, -1, s[2:3]
	v_cmp_le_u32_e64 s[2:3], s24, v10
	s_nop 1
	v_cndmask_b32_e64 v10, 0, -1, s[2:3]
	v_cmp_eq_u32_e64 s[2:3], s25, v3
	s_nop 1
	v_cndmask_b32_e64 v3, v11, v10, s[2:3]
	v_lshl_add_u64 v[10:11], v[8:9], 0, 2
	v_cmp_ne_u32_e64 s[2:3], 0, v3
	s_nop 1
	v_cndmask_b32_e64 v3, v13, v11, s[2:3]
	v_cndmask_b32_e64 v11, 0, -1, vcc
	v_cmp_le_u32_e32 vcc, s24, v14
	s_nop 1
	v_cndmask_b32_e64 v13, 0, -1, vcc
	v_cmp_eq_u32_e32 vcc, s25, v1
	s_nop 1
	v_cndmask_b32_e32 v1, v11, v13, vcc
	v_cmp_ne_u32_e32 vcc, 0, v1
	v_cndmask_b32_e64 v1, v12, v10, s[2:3]
	s_nop 0
	v_cndmask_b32_e32 v139, v9, v3, vcc
	v_cndmask_b32_e32 v138, v8, v1, vcc
.LBB0_4:                                ;   in Loop: Header=BB0_2 Depth=1
	s_andn2_saveexec_b64 s[2:3], s[26:27]
	s_cbranch_execz .LBB0_6
; %bb.5:                                ;   in Loop: Header=BB0_2 Depth=1
	v_cvt_f32_u32_e32 v1, s24
	s_sub_i32 s26, 0, s24
	v_mov_b32_e32 v139, v2
	v_rcp_iflag_f32_e32 v1, v1
	s_nop 0
	v_mul_f32_e32 v1, 0x4f7ffffe, v1
	v_cvt_u32_f32_e32 v1, v1
	v_mul_lo_u32 v3, s26, v1
	v_mul_hi_u32 v3, v1, v3
	v_add_u32_e32 v1, v1, v3
	v_mul_hi_u32 v1, v6, v1
	v_mul_lo_u32 v3, v1, s24
	v_sub_u32_e32 v3, v6, v3
	v_add_u32_e32 v8, 1, v1
	v_subrev_u32_e32 v9, s24, v3
	v_cmp_le_u32_e32 vcc, s24, v3
	s_nop 1
	v_cndmask_b32_e32 v3, v3, v9, vcc
	v_cndmask_b32_e32 v1, v1, v8, vcc
	v_add_u32_e32 v8, 1, v1
	v_cmp_le_u32_e32 vcc, s24, v3
	s_nop 1
	v_cndmask_b32_e32 v138, v1, v8, vcc
.LBB0_6:                                ;   in Loop: Header=BB0_2 Depth=1
	s_or_b64 exec, exec, s[2:3]
	v_mad_u64_u32 v[8:9], s[2:3], v138, s24, 0
	s_load_dwordx2 s[2:3], s[18:19], 0x0
	v_mul_lo_u32 v1, v139, s24
	v_mul_lo_u32 v3, v138, s25
	s_load_dwordx2 s[24:25], s[16:17], 0x0
	s_add_u32 s22, s22, 1
	v_add3_u32 v1, v9, v3, v1
	v_sub_co_u32_e32 v3, vcc, v6, v8
	s_addc_u32 s23, s23, 0
	s_nop 0
	v_subb_co_u32_e32 v1, vcc, v7, v1, vcc
	s_add_u32 s16, s16, 8
	s_waitcnt lgkmcnt(0)
	v_mul_lo_u32 v6, s2, v1
	v_mul_lo_u32 v7, s3, v3
	v_mad_u64_u32 v[4:5], s[2:3], s2, v3, v[4:5]
	s_addc_u32 s17, s17, 0
	v_add3_u32 v5, v7, v5, v6
	v_mul_lo_u32 v1, s24, v1
	v_mul_lo_u32 v6, s25, v3
	v_mad_u64_u32 v[136:137], s[2:3], s24, v3, v[136:137]
	s_add_u32 s18, s18, 8
	v_add3_u32 v137, v6, v137, v1
	s_addc_u32 s19, s19, 0
	v_mov_b64_e32 v[6:7], s[10:11]
	s_add_u32 s20, s20, 8
	v_cmp_ge_u64_e32 vcc, s[22:23], v[6:7]
	s_addc_u32 s21, s21, 0
	s_cbranch_vccnz .LBB0_8
; %bb.7:                                ;   in Loop: Header=BB0_2 Depth=1
	v_mov_b64_e32 v[6:7], v[138:139]
	s_branch .LBB0_2
.LBB0_8:
	s_load_dwordx2 s[0:1], s[0:1], 0x28
	s_lshl_b64 s[16:17], s[10:11], 3
	s_add_u32 s2, s14, s16
	s_addc_u32 s3, s15, s17
                                        ; implicit-def: $vgpr184
	s_waitcnt lgkmcnt(0)
	v_cmp_gt_u64_e32 vcc, s[0:1], v[138:139]
	v_cmp_le_u64_e64 s[0:1], s[0:1], v[138:139]
	s_and_saveexec_b64 s[10:11], s[0:1]
	s_xor_b64 s[0:1], exec, s[10:11]
; %bb.9:
	s_mov_b32 s10, 0xf0f0f10
	v_mul_hi_u32 v1, v0, s10
	v_mul_u32_u24_e32 v1, 17, v1
	v_sub_u32_e32 v184, v0, v1
                                        ; implicit-def: $vgpr0
                                        ; implicit-def: $vgpr4_vgpr5
; %bb.10:
	s_or_saveexec_b64 s[10:11], s[0:1]
	s_load_dwordx2 s[2:3], s[2:3], 0x0
                                        ; implicit-def: $vgpr126_vgpr127
                                        ; implicit-def: $vgpr106_vgpr107
                                        ; implicit-def: $vgpr98_vgpr99
                                        ; implicit-def: $vgpr78_vgpr79
                                        ; implicit-def: $vgpr66_vgpr67
                                        ; implicit-def: $vgpr90_vgpr91
                                        ; implicit-def: $vgpr102_vgpr103
                                        ; implicit-def: $vgpr118_vgpr119
                                        ; implicit-def: $vgpr42_vgpr43
                                        ; implicit-def: $vgpr50_vgpr51
                                        ; implicit-def: $vgpr38_vgpr39
                                        ; implicit-def: $vgpr22_vgpr23
                                        ; implicit-def: $vgpr86_vgpr87
                                        ; implicit-def: $vgpr62_vgpr63
                                        ; implicit-def: $vgpr54_vgpr55
                                        ; implicit-def: $vgpr46_vgpr47
                                        ; implicit-def: $vgpr34_vgpr35
                                        ; implicit-def: $vgpr26_vgpr27
                                        ; implicit-def: $vgpr14_vgpr15
                                        ; implicit-def: $vgpr6_vgpr7
                                        ; implicit-def: $vgpr2_vgpr3
                                        ; implicit-def: $vgpr10_vgpr11
                                        ; implicit-def: $vgpr18_vgpr19
                                        ; implicit-def: $vgpr30_vgpr31
                                        ; implicit-def: $vgpr58_vgpr59
                                        ; implicit-def: $vgpr134_vgpr135
                                        ; implicit-def: $vgpr130_vgpr131
                                        ; implicit-def: $vgpr110_vgpr111
                                        ; implicit-def: $vgpr82_vgpr83
                                        ; implicit-def: $vgpr70_vgpr71
                                        ; implicit-def: $vgpr74_vgpr75
                                        ; implicit-def: $vgpr94_vgpr95
                                        ; implicit-def: $vgpr122_vgpr123
                                        ; implicit-def: $vgpr114_vgpr115
	s_xor_b64 exec, exec, s[10:11]
	s_cbranch_execz .LBB0_14
; %bb.11:
	s_add_u32 s0, s12, s16
	s_addc_u32 s1, s13, s17
	s_load_dwordx2 s[0:1], s[0:1], 0x0
	s_mov_b32 s12, 0xf0f0f10
                                        ; implicit-def: $vgpr56_vgpr57
                                        ; implicit-def: $vgpr28_vgpr29
                                        ; implicit-def: $vgpr16_vgpr17
                                        ; implicit-def: $vgpr8_vgpr9
                                        ; implicit-def: $vgpr12_vgpr13
                                        ; implicit-def: $vgpr24_vgpr25
                                        ; implicit-def: $vgpr32_vgpr33
                                        ; implicit-def: $vgpr44_vgpr45
                                        ; implicit-def: $vgpr52_vgpr53
                                        ; implicit-def: $vgpr60_vgpr61
                                        ; implicit-def: $vgpr84_vgpr85
                                        ; implicit-def: $vgpr20_vgpr21
                                        ; implicit-def: $vgpr36_vgpr37
                                        ; implicit-def: $vgpr48_vgpr49
                                        ; implicit-def: $vgpr40_vgpr41
	s_waitcnt lgkmcnt(0)
	v_mul_lo_u32 v1, s1, v138
	v_mul_lo_u32 v6, s0, v139
	v_mad_u64_u32 v[2:3], s[0:1], s0, v138, 0
	v_add3_u32 v3, v3, v6, v1
	v_mul_hi_u32 v1, v0, s12
	v_mul_u32_u24_e32 v1, 17, v1
	v_sub_u32_e32 v184, v0, v1
	v_lshl_add_u64 v[0:1], v[2:3], 4, s[4:5]
	v_lshl_add_u64 v[0:1], v[4:5], 4, v[0:1]
	v_lshlrev_b32_e32 v2, 4, v184
	v_mov_b32_e32 v3, 0
	v_lshl_add_u64 v[34:35], v[0:1], 0, v[2:3]
	global_load_dwordx4 v[112:115], v[34:35], off
	global_load_dwordx4 v[124:127], v[34:35], off offset:384
	global_load_dwordx4 v[120:123], v[34:35], off offset:768
	global_load_dwordx4 v[104:107], v[34:35], off offset:1152
	global_load_dwordx4 v[96:99], v[34:35], off offset:1536
	global_load_dwordx4 v[92:95], v[34:35], off offset:1920
	global_load_dwordx4 v[76:79], v[34:35], off offset:2304
	global_load_dwordx4 v[72:75], v[34:35], off offset:2688
	global_load_dwordx4 v[68:71], v[34:35], off offset:3072
	global_load_dwordx4 v[64:67], v[34:35], off offset:3456
	s_movk_i32 s0, 0x1000
	v_add_co_u32_e64 v86, s[0:1], s0, v34
	v_or_b32_e32 v4, 0x1200, v2
	s_nop 0
	v_addc_co_u32_e64 v87, s[0:1], 0, v35, s[0:1]
	v_mov_b32_e32 v5, v3
	global_load_dwordx4 v[80:83], v[34:35], off offset:3840
	global_load_dwordx4 v[88:91], v[86:87], off offset:128
	v_lshl_add_u64 v[4:5], v[0:1], 0, v[4:5]
	global_load_dwordx4 v[108:111], v[86:87], off offset:896
	global_load_dwordx4 v[116:119], v[86:87], off offset:1280
	global_load_dwordx4 v[100:103], v[4:5], off
	global_load_dwordx4 v[128:131], v[86:87], off offset:1664
	v_or_b32_e32 v2, 0x1800, v2
	v_lshl_add_u64 v[0:1], v[0:1], 0, v[2:3]
	global_load_dwordx4 v[132:135], v[0:1], off
	v_cmp_gt_u32_e64 s[0:1], 7, v184
                                        ; implicit-def: $vgpr0_vgpr1
                                        ; implicit-def: $vgpr4_vgpr5
	s_and_saveexec_b64 s[4:5], s[0:1]
	s_cbranch_execz .LBB0_13
; %bb.12:
	global_load_dwordx4 v[40:43], v[34:35], off offset:272
	global_load_dwordx4 v[56:59], v[34:35], off offset:656
	;; [unrolled: 1-line block ×12, first 2 shown]
                                        ; kill: killed $vgpr34 killed $vgpr35
	s_nop 0
	global_load_dwordx4 v[32:35], v[86:87], off offset:784
	global_load_dwordx4 v[44:47], v[86:87], off offset:1168
	;; [unrolled: 1-line block ×4, first 2 shown]
	s_nop 0
	global_load_dwordx4 v[84:87], v[86:87], off offset:2320
.LBB0_13:
	s_or_b64 exec, exec, s[4:5]
.LBB0_14:
	s_or_b64 exec, exec, s[10:11]
	s_mov_b32 s0, 0xaaaaaaab
	v_mul_hi_u32 v141, v140, s0
	s_mov_b32 s20, 0x5d8e7cdc
	s_mov_b32 s34, 0x2a9d6da3
	;; [unrolled: 1-line block ×8, first 2 shown]
	v_lshrrev_b32_e32 v141, 1, v141
	s_waitcnt vmcnt(0)
	v_add_f64 v[144:145], v[126:127], -v[134:135]
	s_mov_b32 s21, 0xbfd71e95
	s_mov_b32 s14, 0x370991
	;; [unrolled: 1-line block ×16, first 2 shown]
	v_lshl_add_u32 v141, v141, 1, v141
	v_add_f64 v[142:143], v[124:125], v[132:133]
	v_mul_f64 v[146:147], v[144:145], s[20:21]
	s_mov_b32 s15, 0x3fedd6d0
	v_mul_f64 v[150:151], v[144:145], s[34:35]
	s_mov_b32 s13, 0x3fe7a5f6
	;; [unrolled: 2-line block ×8, first 2 shown]
	v_sub_u32_e32 v140, v140, v141
	v_fma_f64 v[148:149], s[14:15], v[142:143], v[146:147]
	v_fma_f64 v[146:147], v[142:143], s[14:15], -v[146:147]
	v_fma_f64 v[152:153], s[12:13], v[142:143], v[150:151]
	v_fma_f64 v[150:151], v[142:143], s[12:13], -v[150:151]
	;; [unrolled: 2-line block ×8, first 2 shown]
	v_add_f64 v[144:145], v[122:123], -v[130:131]
	v_mul_u32_u24_e32 v180, 0x198, v140
	v_add_f64 v[140:141], v[124:125], v[112:113]
	v_add_f64 v[148:149], v[148:149], v[112:113]
	;; [unrolled: 1-line block ×18, first 2 shown]
	v_mul_f64 v[176:177], v[144:145], s[34:35]
	v_fma_f64 v[178:179], s[12:13], v[142:143], v[176:177]
	v_fma_f64 v[176:177], v[142:143], s[12:13], -v[176:177]
	v_add_f64 v[146:147], v[176:177], v[146:147]
	v_mul_f64 v[176:177], v[144:145], s[30:31]
	v_add_f64 v[148:149], v[178:179], v[148:149]
	v_fma_f64 v[178:179], s[4:5], v[142:143], v[176:177]
	v_fma_f64 v[176:177], v[142:143], s[4:5], -v[176:177]
	v_add_f64 v[150:151], v[176:177], v[150:151]
	v_mul_f64 v[176:177], v[144:145], s[22:23]
	v_add_f64 v[152:153], v[178:179], v[152:153]
	;; [unrolled: 5-line block ×3, first 2 shown]
	v_fma_f64 v[178:179], s[38:39], v[142:143], v[176:177]
	v_fma_f64 v[176:177], v[142:143], s[38:39], -v[176:177]
	s_mov_b32 s53, 0x3fe0d888
	s_mov_b32 s52, s26
	v_add_f64 v[158:159], v[176:177], v[158:159]
	v_mul_f64 v[176:177], v[144:145], s[52:53]
	v_add_f64 v[160:161], v[178:179], v[160:161]
	v_fma_f64 v[178:179], s[28:29], v[142:143], v[176:177]
	v_fma_f64 v[176:177], v[142:143], s[28:29], -v[176:177]
	s_mov_b32 s51, 0x3feec746
	s_mov_b32 s50, s16
	v_add_f64 v[162:163], v[176:177], v[162:163]
	v_mul_f64 v[176:177], v[144:145], s[50:51]
	v_add_f64 v[164:165], v[178:179], v[164:165]
	v_fma_f64 v[178:179], s[18:19], v[142:143], v[176:177]
	v_fma_f64 v[176:177], v[142:143], s[18:19], -v[176:177]
	s_mov_b32 s41, 0x3feca52d
	s_mov_b32 s40, s44
	v_add_f64 v[166:167], v[176:177], v[166:167]
	v_mul_f64 v[176:177], v[144:145], s[40:41]
	s_mov_b32 s43, 0x3fd71e95
	s_mov_b32 s42, s20
	v_add_f64 v[168:169], v[178:179], v[168:169]
	v_fma_f64 v[178:179], s[10:11], v[142:143], v[176:177]
	v_fma_f64 v[176:177], v[142:143], s[10:11], -v[176:177]
	v_mul_f64 v[144:145], v[144:145], s[42:43]
	v_add_f64 v[170:171], v[176:177], v[170:171]
	v_fma_f64 v[176:177], s[14:15], v[142:143], v[144:145]
	v_fma_f64 v[142:143], v[142:143], s[14:15], -v[144:145]
	v_add_f64 v[144:145], v[106:107], -v[118:119]
	v_add_f64 v[174:175], v[176:177], v[174:175]
	v_add_f64 v[112:113], v[142:143], v[112:113]
	;; [unrolled: 1-line block ×3, first 2 shown]
	v_mul_f64 v[176:177], v[144:145], s[44:45]
	v_add_f64 v[172:173], v[178:179], v[172:173]
	v_fma_f64 v[178:179], s[10:11], v[142:143], v[176:177]
	v_fma_f64 v[176:177], v[142:143], s[10:11], -v[176:177]
	v_add_f64 v[146:147], v[176:177], v[146:147]
	v_mul_f64 v[176:177], v[144:145], s[22:23]
	v_add_f64 v[148:149], v[178:179], v[148:149]
	v_fma_f64 v[178:179], s[24:25], v[142:143], v[176:177]
	v_fma_f64 v[176:177], v[142:143], s[24:25], -v[176:177]
	s_mov_b32 s57, 0x3fc7851a
	s_mov_b32 s56, s36
	v_add_f64 v[150:151], v[176:177], v[150:151]
	v_mul_f64 v[176:177], v[144:145], s[56:57]
	v_add_f64 v[152:153], v[178:179], v[152:153]
	v_fma_f64 v[178:179], s[38:39], v[142:143], v[176:177]
	v_fma_f64 v[176:177], v[142:143], s[38:39], -v[176:177]
	v_add_f64 v[154:155], v[176:177], v[154:155]
	v_mul_f64 v[176:177], v[144:145], s[50:51]
	v_add_f64 v[156:157], v[178:179], v[156:157]
	v_fma_f64 v[178:179], s[18:19], v[142:143], v[176:177]
	v_fma_f64 v[176:177], v[142:143], s[18:19], -v[176:177]
	s_mov_b32 s47, 0x3fe58eea
	s_mov_b32 s46, s34
	v_add_f64 v[158:159], v[176:177], v[158:159]
	v_mul_f64 v[176:177], v[144:145], s[46:47]
	v_add_f64 v[160:161], v[178:179], v[160:161]
	v_fma_f64 v[178:179], s[12:13], v[142:143], v[176:177]
	v_fma_f64 v[176:177], v[142:143], s[12:13], -v[176:177]
	v_add_f64 v[162:163], v[176:177], v[162:163]
	v_mul_f64 v[176:177], v[144:145], s[20:21]
	v_add_f64 v[164:165], v[178:179], v[164:165]
	v_fma_f64 v[178:179], s[14:15], v[142:143], v[176:177]
	v_fma_f64 v[176:177], v[142:143], s[14:15], -v[176:177]
	;; [unrolled: 5-line block ×3, first 2 shown]
	v_mul_f64 v[144:145], v[144:145], s[26:27]
	v_add_f64 v[170:171], v[176:177], v[170:171]
	v_fma_f64 v[176:177], s[28:29], v[142:143], v[144:145]
	v_fma_f64 v[142:143], v[142:143], s[28:29], -v[144:145]
	v_add_f64 v[144:145], v[98:99], -v[110:111]
	v_add_f64 v[174:175], v[176:177], v[174:175]
	v_add_f64 v[112:113], v[142:143], v[112:113]
	;; [unrolled: 1-line block ×3, first 2 shown]
	v_mul_f64 v[176:177], v[144:145], s[30:31]
	v_add_f64 v[172:173], v[178:179], v[172:173]
	v_fma_f64 v[178:179], s[4:5], v[142:143], v[176:177]
	v_fma_f64 v[176:177], v[142:143], s[4:5], -v[176:177]
	v_add_f64 v[146:147], v[176:177], v[146:147]
	v_mul_f64 v[176:177], v[144:145], s[36:37]
	v_add_f64 v[148:149], v[178:179], v[148:149]
	v_fma_f64 v[178:179], s[38:39], v[142:143], v[176:177]
	v_fma_f64 v[176:177], v[142:143], s[38:39], -v[176:177]
	v_add_f64 v[150:151], v[176:177], v[150:151]
	;; [unrolled: 5-line block ×5, first 2 shown]
	v_mul_f64 v[176:177], v[144:145], s[26:27]
	v_add_f64 v[164:165], v[178:179], v[164:165]
	v_fma_f64 v[178:179], s[28:29], v[142:143], v[176:177]
	v_fma_f64 v[176:177], v[142:143], s[28:29], -v[176:177]
	s_mov_b32 s55, 0x3fe9895b
	s_mov_b32 s54, s22
	v_add_f64 v[166:167], v[176:177], v[166:167]
	v_mul_f64 v[176:177], v[144:145], s[54:55]
	v_add_f64 v[168:169], v[178:179], v[168:169]
	v_fma_f64 v[178:179], s[24:25], v[142:143], v[176:177]
	v_fma_f64 v[176:177], v[142:143], s[24:25], -v[176:177]
	v_mul_f64 v[144:145], v[144:145], s[46:47]
	v_add_f64 v[170:171], v[176:177], v[170:171]
	v_fma_f64 v[176:177], s[12:13], v[142:143], v[144:145]
	v_fma_f64 v[142:143], v[142:143], s[12:13], -v[144:145]
	v_add_f64 v[144:145], v[94:95], -v[102:103]
	v_add_f64 v[174:175], v[176:177], v[174:175]
	v_add_f64 v[112:113], v[142:143], v[112:113]
	;; [unrolled: 1-line block ×3, first 2 shown]
	v_mul_f64 v[176:177], v[144:145], s[16:17]
	v_add_f64 v[172:173], v[178:179], v[172:173]
	v_fma_f64 v[178:179], s[18:19], v[142:143], v[176:177]
	v_fma_f64 v[176:177], v[142:143], s[18:19], -v[176:177]
	v_add_f64 v[146:147], v[176:177], v[146:147]
	v_mul_f64 v[176:177], v[144:145], s[52:53]
	v_add_f64 v[148:149], v[178:179], v[148:149]
	v_fma_f64 v[178:179], s[28:29], v[142:143], v[176:177]
	v_fma_f64 v[176:177], v[142:143], s[28:29], -v[176:177]
	v_add_f64 v[150:151], v[176:177], v[150:151]
	;; [unrolled: 5-line block ×4, first 2 shown]
	v_mul_f64 v[176:177], v[144:145], s[36:37]
	v_add_f64 v[160:161], v[178:179], v[160:161]
	v_fma_f64 v[178:179], s[38:39], v[142:143], v[176:177]
	v_fma_f64 v[176:177], v[142:143], s[38:39], -v[176:177]
	s_mov_b32 s49, 0x3fefdd0d
	s_mov_b32 s48, s30
	v_add_f64 v[162:163], v[176:177], v[162:163]
	v_mul_f64 v[176:177], v[144:145], s[48:49]
	v_add_f64 v[164:165], v[178:179], v[164:165]
	v_fma_f64 v[178:179], s[4:5], v[142:143], v[176:177]
	v_fma_f64 v[176:177], v[142:143], s[4:5], -v[176:177]
	v_add_f64 v[166:167], v[176:177], v[166:167]
	v_mul_f64 v[176:177], v[144:145], s[20:21]
	v_add_f64 v[168:169], v[178:179], v[168:169]
	v_fma_f64 v[178:179], s[14:15], v[142:143], v[176:177]
	v_fma_f64 v[176:177], v[142:143], s[14:15], -v[176:177]
	v_mul_f64 v[144:145], v[144:145], s[22:23]
	v_add_f64 v[170:171], v[176:177], v[170:171]
	v_fma_f64 v[176:177], s[24:25], v[142:143], v[144:145]
	v_fma_f64 v[142:143], v[142:143], s[24:25], -v[144:145]
	v_add_f64 v[144:145], v[78:79], -v[90:91]
	v_add_f64 v[174:175], v[176:177], v[174:175]
	v_add_f64 v[112:113], v[142:143], v[112:113]
	;; [unrolled: 1-line block ×3, first 2 shown]
	v_mul_f64 v[176:177], v[144:145], s[22:23]
	v_add_f64 v[172:173], v[178:179], v[172:173]
	v_fma_f64 v[178:179], s[24:25], v[142:143], v[176:177]
	v_fma_f64 v[176:177], v[142:143], s[24:25], -v[176:177]
	v_add_f64 v[146:147], v[176:177], v[146:147]
	v_mul_f64 v[176:177], v[144:145], s[50:51]
	v_add_f64 v[148:149], v[178:179], v[148:149]
	v_fma_f64 v[178:179], s[18:19], v[142:143], v[176:177]
	v_fma_f64 v[176:177], v[142:143], s[18:19], -v[176:177]
	v_add_f64 v[150:151], v[176:177], v[150:151]
	;; [unrolled: 5-line block ×6, first 2 shown]
	v_mul_f64 v[176:177], v[144:145], s[36:37]
	v_add_f64 v[168:169], v[178:179], v[168:169]
	v_fma_f64 v[178:179], s[38:39], v[142:143], v[176:177]
	v_fma_f64 v[176:177], v[142:143], s[38:39], -v[176:177]
	v_mul_f64 v[144:145], v[144:145], s[40:41]
	v_add_f64 v[170:171], v[176:177], v[170:171]
	v_fma_f64 v[176:177], s[10:11], v[142:143], v[144:145]
	v_fma_f64 v[142:143], v[142:143], s[10:11], -v[144:145]
	v_add_f64 v[144:145], v[74:75], -v[82:83]
	v_add_f64 v[174:175], v[176:177], v[174:175]
	v_add_f64 v[112:113], v[142:143], v[112:113]
	;; [unrolled: 1-line block ×3, first 2 shown]
	v_mul_f64 v[176:177], v[144:145], s[26:27]
	v_add_f64 v[172:173], v[178:179], v[172:173]
	v_fma_f64 v[178:179], s[28:29], v[142:143], v[176:177]
	v_fma_f64 v[176:177], v[142:143], s[28:29], -v[176:177]
	v_add_f64 v[146:147], v[176:177], v[146:147]
	v_mul_f64 v[176:177], v[144:145], s[40:41]
	v_add_f64 v[148:149], v[178:179], v[148:149]
	v_fma_f64 v[178:179], s[10:11], v[142:143], v[176:177]
	v_fma_f64 v[176:177], v[142:143], s[10:11], -v[176:177]
	v_add_f64 v[150:151], v[176:177], v[150:151]
	;; [unrolled: 5-line block ×6, first 2 shown]
	v_mul_f64 v[176:177], v[144:145], s[46:47]
	v_add_f64 v[168:169], v[178:179], v[168:169]
	v_fma_f64 v[178:179], s[12:13], v[142:143], v[176:177]
	v_fma_f64 v[176:177], v[142:143], s[12:13], -v[176:177]
	v_mul_f64 v[144:145], v[144:145], s[16:17]
	v_add_f64 v[170:171], v[176:177], v[170:171]
	v_fma_f64 v[176:177], s[18:19], v[142:143], v[144:145]
	v_fma_f64 v[142:143], v[142:143], s[18:19], -v[144:145]
	v_add_f64 v[144:145], v[70:71], -v[66:67]
	v_add_f64 v[174:175], v[176:177], v[174:175]
	v_add_f64 v[112:113], v[142:143], v[112:113]
	;; [unrolled: 1-line block ×3, first 2 shown]
	v_mul_f64 v[176:177], v[144:145], s[36:37]
	v_add_f64 v[172:173], v[178:179], v[172:173]
	v_fma_f64 v[178:179], s[38:39], v[142:143], v[176:177]
	v_fma_f64 v[176:177], v[142:143], s[38:39], -v[176:177]
	v_add_f64 v[140:141], v[120:121], v[140:141]
	v_add_f64 v[146:147], v[176:177], v[146:147]
	v_mul_f64 v[176:177], v[144:145], s[42:43]
	v_add_f64 v[140:141], v[104:105], v[140:141]
	v_add_f64 v[148:149], v[178:179], v[148:149]
	v_fma_f64 v[178:179], s[14:15], v[142:143], v[176:177]
	v_fma_f64 v[176:177], v[142:143], s[14:15], -v[176:177]
	v_add_f64 v[140:141], v[96:97], v[140:141]
	v_add_f64 v[150:151], v[176:177], v[150:151]
	v_mul_f64 v[176:177], v[144:145], s[26:27]
	v_add_f64 v[140:141], v[92:93], v[140:141]
	;; [unrolled: 7-line block ×6, first 2 shown]
	v_add_f64 v[168:169], v[178:179], v[168:169]
	v_fma_f64 v[178:179], s[18:19], v[142:143], v[176:177]
	v_fma_f64 v[176:177], v[142:143], s[18:19], -v[176:177]
	v_mul_f64 v[144:145], v[144:145], s[48:49]
	v_add_f64 v[140:141], v[116:117], v[140:141]
	v_add_f64 v[170:171], v[176:177], v[170:171]
	v_fma_f64 v[176:177], s[4:5], v[142:143], v[144:145]
	v_fma_f64 v[142:143], v[142:143], s[4:5], -v[144:145]
	v_add_f64 v[140:141], v[128:129], v[140:141]
	v_add_f64 v[112:113], v[142:143], v[112:113]
	v_mul_u32_u24_e32 v142, 0x88, v184
	v_lshlrev_b32_e32 v185, 3, v180
	v_add_f64 v[140:141], v[132:133], v[140:141]
	v_add3_u32 v187, 0, v142, v185
	v_add_u32_e32 v186, 17, v184
	v_cmp_gt_u32_e64 s[0:1], 7, v184
	v_add_f64 v[172:173], v[178:179], v[172:173]
	v_add_f64 v[174:175], v[176:177], v[174:175]
	ds_write2_b64 v187, v[140:141], v[148:149] offset1:1
	ds_write2_b64 v187, v[152:153], v[156:157] offset0:2 offset1:3
	ds_write2_b64 v187, v[160:161], v[164:165] offset0:4 offset1:5
	;; [unrolled: 1-line block ×7, first 2 shown]
	ds_write_b64 v187, v[146:147] offset:128
	s_and_saveexec_b64 s[58:59], s[0:1]
	s_cbranch_execz .LBB0_16
; %bb.15:
	v_add_f64 v[174:175], v[84:85], v[56:57]
	v_add_f64 v[172:173], v[48:49], v[60:61]
	v_mul_f64 v[202:203], v[174:175], s[38:39]
	v_add_f64 v[156:157], v[58:59], -v[86:87]
	v_add_f64 v[170:171], v[36:37], v[52:53]
	v_mul_f64 v[198:199], v[172:173], s[14:15]
	v_add_f64 v[154:155], v[50:51], -v[62:63]
	v_fma_f64 v[204:205], s[56:57], v[156:157], v[202:203]
	v_add_f64 v[168:169], v[44:45], v[28:29]
	v_mul_f64 v[194:195], v[170:171], s[28:29]
	v_add_f64 v[152:153], v[38:39], -v[54:55]
	v_fma_f64 v[200:201], s[20:21], v[154:155], v[198:199]
	v_add_f64 v[204:205], v[40:41], v[204:205]
	v_add_f64 v[166:167], v[20:21], v[32:33]
	v_mul_f64 v[190:191], v[168:169], s[12:13]
	v_add_f64 v[150:151], v[30:31], -v[46:47]
	v_fma_f64 v[196:197], s[52:53], v[152:153], v[194:195]
	v_add_f64 v[200:201], v[200:201], v[204:205]
	;; [unrolled: 5-line block ×5, first 2 shown]
	v_mul_f64 v[140:141], v[160:161], s[4:5]
	v_add_f64 v[142:143], v[2:3], -v[6:7]
	v_fma_f64 v[176:177], s[50:51], v[144:145], v[158:159]
	v_add_f64 v[180:181], v[180:181], v[188:189]
	v_fma_f64 v[112:113], s[30:31], v[142:143], v[140:141]
	v_add_f64 v[176:177], v[176:177], v[180:181]
	v_fmac_f64_e32 v[202:203], s[36:37], v[156:157]
	v_mul_f64 v[206:207], v[174:175], s[28:29]
	v_add_f64 v[112:113], v[112:113], v[176:177]
	v_fmac_f64_e32 v[198:199], s[42:43], v[154:155]
	v_add_f64 v[176:177], v[40:41], v[202:203]
	v_mul_f64 v[202:203], v[172:173], s[10:11]
	v_fma_f64 v[208:209], s[52:53], v[156:157], v[206:207]
	v_fmac_f64_e32 v[194:195], s[26:27], v[152:153]
	v_add_f64 v[176:177], v[198:199], v[176:177]
	v_mul_f64 v[198:199], v[170:171], s[4:5]
	v_fma_f64 v[204:205], s[44:45], v[154:155], v[202:203]
	v_add_f64 v[208:209], v[40:41], v[208:209]
	v_fmac_f64_e32 v[190:191], s[46:47], v[150:151]
	v_add_f64 v[176:177], v[194:195], v[176:177]
	v_mul_f64 v[194:195], v[168:169], s[24:25]
	v_fma_f64 v[200:201], s[48:49], v[152:153], v[198:199]
	v_add_f64 v[204:205], v[204:205], v[208:209]
	v_fmac_f64_e32 v[182:183], s[22:23], v[148:149]
	v_add_f64 v[176:177], v[190:191], v[176:177]
	v_mul_f64 v[190:191], v[166:167], s[14:15]
	v_fma_f64 v[196:197], s[22:23], v[150:151], v[194:195]
	v_add_f64 v[200:201], v[200:201], v[204:205]
	v_fmac_f64_e32 v[178:179], s[40:41], v[146:147]
	v_add_f64 v[176:177], v[182:183], v[176:177]
	v_mul_f64 v[182:183], v[164:165], s[38:39]
	v_fma_f64 v[192:193], s[42:43], v[148:149], v[190:191]
	v_add_f64 v[196:197], v[196:197], v[200:201]
	v_fmac_f64_e32 v[158:159], s[16:17], v[144:145]
	v_add_f64 v[176:177], v[178:179], v[176:177]
	v_mul_f64 v[178:179], v[162:163], s[12:13]
	v_fma_f64 v[188:189], s[56:57], v[146:147], v[182:183]
	v_add_f64 v[192:193], v[192:193], v[196:197]
	v_fmac_f64_e32 v[140:141], s[48:49], v[142:143]
	v_add_f64 v[158:159], v[158:159], v[176:177]
	v_mul_f64 v[176:177], v[160:161], s[18:19]
	v_fma_f64 v[180:181], s[34:35], v[144:145], v[178:179]
	v_add_f64 v[188:189], v[188:189], v[192:193]
	v_add_f64 v[140:141], v[140:141], v[158:159]
	v_fma_f64 v[158:159], s[50:51], v[142:143], v[176:177]
	v_add_f64 v[180:181], v[180:181], v[188:189]
	v_fmac_f64_e32 v[206:207], s[26:27], v[156:157]
	v_mul_f64 v[210:211], v[174:175], s[24:25]
	v_add_f64 v[158:159], v[158:159], v[180:181]
	v_fmac_f64_e32 v[202:203], s[40:41], v[154:155]
	v_add_f64 v[180:181], v[40:41], v[206:207]
	v_mul_f64 v[206:207], v[172:173], s[18:19]
	v_fma_f64 v[212:213], s[54:55], v[156:157], v[210:211]
	v_fmac_f64_e32 v[198:199], s[30:31], v[152:153]
	v_add_f64 v[180:181], v[202:203], v[180:181]
	v_mul_f64 v[202:203], v[170:171], s[14:15]
	v_fma_f64 v[208:209], s[16:17], v[154:155], v[206:207]
	v_add_f64 v[212:213], v[40:41], v[212:213]
	v_fmac_f64_e32 v[194:195], s[54:55], v[150:151]
	v_add_f64 v[180:181], v[198:199], v[180:181]
	v_mul_f64 v[198:199], v[168:169], s[28:29]
	v_fma_f64 v[204:205], s[42:43], v[152:153], v[202:203]
	v_add_f64 v[208:209], v[208:209], v[212:213]
	v_fmac_f64_e32 v[190:191], s[20:21], v[148:149]
	v_add_f64 v[180:181], v[194:195], v[180:181]
	v_mul_f64 v[194:195], v[166:167], s[4:5]
	v_fma_f64 v[200:201], s[52:53], v[150:151], v[198:199]
	v_add_f64 v[204:205], v[204:205], v[208:209]
	v_fmac_f64_e32 v[182:183], s[36:37], v[146:147]
	v_add_f64 v[180:181], v[190:191], v[180:181]
	v_mul_f64 v[190:191], v[164:165], s[12:13]
	v_fma_f64 v[196:197], s[30:31], v[148:149], v[194:195]
	v_add_f64 v[200:201], v[200:201], v[204:205]
	v_fmac_f64_e32 v[178:179], s[46:47], v[144:145]
	v_add_f64 v[180:181], v[182:183], v[180:181]
	v_mul_f64 v[182:183], v[162:163], s[38:39]
	v_fma_f64 v[192:193], s[46:47], v[146:147], v[190:191]
	v_add_f64 v[196:197], v[196:197], v[200:201]
	v_fmac_f64_e32 v[176:177], s[16:17], v[142:143]
	v_add_f64 v[178:179], v[178:179], v[180:181]
	v_mul_f64 v[180:181], v[160:161], s[10:11]
	v_fma_f64 v[188:189], s[56:57], v[144:145], v[182:183]
	v_add_f64 v[192:193], v[192:193], v[196:197]
	;; [unrolled: 40-line block ×3, first 2 shown]
	v_add_f64 v[180:181], v[180:181], v[182:183]
	v_fma_f64 v[182:183], s[54:55], v[142:143], v[188:189]
	v_add_f64 v[192:193], v[192:193], v[196:197]
	v_fmac_f64_e32 v[214:215], s[16:17], v[156:157]
	v_add_f64 v[182:183], v[182:183], v[192:193]
	v_fmac_f64_e32 v[210:211], s[52:53], v[154:155]
	v_add_f64 v[192:193], v[40:41], v[214:215]
	v_mul_f64 v[218:219], v[174:175], s[4:5]
	v_fmac_f64_e32 v[206:207], s[46:47], v[152:153]
	v_add_f64 v[192:193], v[210:211], v[192:193]
	v_mul_f64 v[214:215], v[172:173], s[38:39]
	v_fma_f64 v[220:221], s[48:49], v[156:157], v[218:219]
	v_fmac_f64_e32 v[202:203], s[44:45], v[150:151]
	v_add_f64 v[192:193], v[206:207], v[192:193]
	v_mul_f64 v[210:211], v[170:171], s[18:19]
	v_fma_f64 v[216:217], s[56:57], v[154:155], v[214:215]
	v_add_f64 v[220:221], v[40:41], v[220:221]
	v_fmac_f64_e32 v[198:199], s[36:37], v[148:149]
	v_add_f64 v[192:193], v[202:203], v[192:193]
	v_mul_f64 v[206:207], v[168:169], s[14:15]
	v_fma_f64 v[212:213], s[16:17], v[152:153], v[210:211]
	v_add_f64 v[216:217], v[216:217], v[220:221]
	v_fmac_f64_e32 v[194:195], s[48:49], v[146:147]
	v_add_f64 v[192:193], v[198:199], v[192:193]
	v_mul_f64 v[202:203], v[166:167], s[10:11]
	v_fma_f64 v[208:209], s[20:21], v[150:151], v[206:207]
	v_add_f64 v[212:213], v[212:213], v[216:217]
	v_fmac_f64_e32 v[190:191], s[20:21], v[144:145]
	v_add_f64 v[192:193], v[194:195], v[192:193]
	v_mul_f64 v[198:199], v[164:165], s[28:29]
	v_fma_f64 v[204:205], s[40:41], v[148:149], v[202:203]
	v_add_f64 v[208:209], v[208:209], v[212:213]
	v_fmac_f64_e32 v[188:189], s[22:23], v[142:143]
	v_add_f64 v[190:191], v[190:191], v[192:193]
	v_mul_f64 v[194:195], v[162:163], s[24:25]
	v_fma_f64 v[200:201], s[52:53], v[146:147], v[198:199]
	v_add_f64 v[204:205], v[204:205], v[208:209]
	v_add_f64 v[188:189], v[188:189], v[190:191]
	v_mul_f64 v[190:191], v[160:161], s[12:13]
	v_fma_f64 v[196:197], s[22:23], v[144:145], v[194:195]
	v_add_f64 v[200:201], v[200:201], v[204:205]
	v_fma_f64 v[192:193], s[34:35], v[142:143], v[190:191]
	v_add_f64 v[196:197], v[196:197], v[200:201]
	v_fmac_f64_e32 v[218:219], s[30:31], v[156:157]
	v_add_f64 v[192:193], v[192:193], v[196:197]
	v_fmac_f64_e32 v[214:215], s[36:37], v[154:155]
	v_add_f64 v[196:197], v[40:41], v[218:219]
	v_mul_f64 v[222:223], v[174:175], s[10:11]
	v_fmac_f64_e32 v[210:211], s[50:51], v[152:153]
	v_add_f64 v[196:197], v[214:215], v[196:197]
	v_mul_f64 v[218:219], v[172:173], s[24:25]
	v_fma_f64 v[224:225], s[40:41], v[156:157], v[222:223]
	v_fmac_f64_e32 v[206:207], s[42:43], v[150:151]
	v_add_f64 v[196:197], v[210:211], v[196:197]
	v_mul_f64 v[214:215], v[170:171], s[38:39]
	v_fma_f64 v[220:221], s[54:55], v[154:155], v[218:219]
	v_add_f64 v[224:225], v[40:41], v[224:225]
	v_fmac_f64_e32 v[202:203], s[44:45], v[148:149]
	v_add_f64 v[196:197], v[206:207], v[196:197]
	v_mul_f64 v[210:211], v[168:169], s[18:19]
	v_fma_f64 v[216:217], s[36:37], v[152:153], v[214:215]
	v_add_f64 v[220:221], v[220:221], v[224:225]
	v_fmac_f64_e32 v[198:199], s[26:27], v[146:147]
	v_add_f64 v[196:197], v[202:203], v[196:197]
	v_mul_f64 v[206:207], v[166:167], s[12:13]
	v_fma_f64 v[212:213], s[16:17], v[150:151], v[210:211]
	v_add_f64 v[216:217], v[216:217], v[220:221]
	v_fmac_f64_e32 v[194:195], s[54:55], v[144:145]
	v_add_f64 v[196:197], v[198:199], v[196:197]
	v_mul_f64 v[202:203], v[164:165], s[14:15]
	v_fma_f64 v[208:209], s[34:35], v[148:149], v[206:207]
	v_add_f64 v[212:213], v[212:213], v[216:217]
	v_fmac_f64_e32 v[190:191], s[46:47], v[142:143]
	v_add_f64 v[194:195], v[194:195], v[196:197]
	v_mul_f64 v[198:199], v[162:163], s[4:5]
	v_fma_f64 v[204:205], s[42:43], v[146:147], v[202:203]
	v_add_f64 v[208:209], v[208:209], v[212:213]
	v_add_f64 v[190:191], v[190:191], v[194:195]
	v_mul_f64 v[194:195], v[160:161], s[28:29]
	v_fma_f64 v[200:201], s[48:49], v[144:145], v[198:199]
	;; [unrolled: 40-line block ×3, first 2 shown]
	v_add_f64 v[208:209], v[208:209], v[212:213]
	v_fma_f64 v[200:201], s[20:21], v[142:143], v[198:199]
	v_add_f64 v[204:205], v[204:205], v[208:209]
	v_fmac_f64_e32 v[226:227], s[34:35], v[156:157]
	v_add_f64 v[200:201], v[200:201], v[204:205]
	v_fmac_f64_e32 v[222:223], s[30:31], v[154:155]
	;; [unrolled: 2-line block ×7, first 2 shown]
	v_add_f64 v[204:205], v[206:207], v[204:205]
	v_mul_f64 v[174:175], v[174:175], s[14:15]
	v_fmac_f64_e32 v[198:199], s[42:43], v[142:143]
	v_add_f64 v[202:203], v[202:203], v[204:205]
	v_mul_f64 v[160:161], v[160:161], s[38:39]
	v_fma_f64 v[216:217], s[42:43], v[156:157], v[174:175]
	v_fmac_f64_e32 v[174:175], s[20:21], v[156:157]
	v_add_f64 v[198:199], v[198:199], v[202:203]
	v_fma_f64 v[202:203], s[56:57], v[142:143], v[160:161]
	v_add_f64 v[216:217], v[40:41], v[216:217]
	v_fmac_f64_e32 v[160:161], s[36:37], v[142:143]
	v_add_f64 v[142:143], v[40:41], v[174:175]
	v_add_f64 v[40:41], v[40:41], v[56:57]
	v_add_f64 v[40:41], v[48:49], v[40:41]
	v_add_f64 v[40:41], v[36:37], v[40:41]
	v_add_f64 v[40:41], v[28:29], v[40:41]
	v_add_f64 v[40:41], v[20:21], v[40:41]
	v_add_f64 v[40:41], v[16:17], v[40:41]
	v_add_f64 v[40:41], v[8:9], v[40:41]
	v_mul_f64 v[172:173], v[172:173], s[12:13]
	v_add_f64 v[40:41], v[0:1], v[40:41]
	v_mul_f64 v[170:171], v[170:171], s[10:11]
	v_fma_f64 v[214:215], s[46:47], v[154:155], v[172:173]
	v_fmac_f64_e32 v[172:173], s[34:35], v[154:155]
	v_add_f64 v[40:41], v[4:5], v[40:41]
	v_mul_f64 v[168:169], v[168:169], s[4:5]
	v_fma_f64 v[212:213], s[40:41], v[152:153], v[170:171]
	v_fmac_f64_e32 v[170:171], s[44:45], v[152:153]
	v_add_f64 v[142:143], v[172:173], v[142:143]
	v_add_f64 v[40:41], v[12:13], v[40:41]
	v_mul_f64 v[166:167], v[166:167], s[18:19]
	v_fma_f64 v[210:211], s[48:49], v[150:151], v[168:169]
	v_add_f64 v[214:215], v[214:215], v[216:217]
	v_fmac_f64_e32 v[168:169], s[30:31], v[150:151]
	v_add_f64 v[142:143], v[170:171], v[142:143]
	v_add_f64 v[40:41], v[24:25], v[40:41]
	v_mul_f64 v[164:165], v[164:165], s[24:25]
	v_fma_f64 v[208:209], s[50:51], v[148:149], v[166:167]
	v_add_f64 v[212:213], v[212:213], v[214:215]
	;; [unrolled: 6-line block ×3, first 2 shown]
	v_fmac_f64_e32 v[164:165], s[22:23], v[146:147]
	v_add_f64 v[142:143], v[166:167], v[142:143]
	v_add_f64 v[40:41], v[44:45], v[40:41]
	v_fma_f64 v[204:205], s[52:53], v[144:145], v[162:163]
	v_add_f64 v[208:209], v[208:209], v[210:211]
	v_fmac_f64_e32 v[162:163], s[26:27], v[144:145]
	v_add_f64 v[142:143], v[164:165], v[142:143]
	v_add_f64 v[40:41], v[52:53], v[40:41]
	;; [unrolled: 1-line block ×5, first 2 shown]
	v_mul_u32_u24_e32 v144, 0x88, v186
	v_add_f64 v[204:205], v[204:205], v[206:207]
	v_add_f64 v[142:143], v[160:161], v[142:143]
	;; [unrolled: 1-line block ×3, first 2 shown]
	v_add3_u32 v144, 0, v144, v185
	v_add_f64 v[202:203], v[202:203], v[204:205]
	ds_write2_b64 v144, v[40:41], v[142:143] offset1:1
	ds_write2_b64 v144, v[198:199], v[194:195] offset0:2 offset1:3
	ds_write2_b64 v144, v[190:191], v[188:189] offset0:4 offset1:5
	;; [unrolled: 1-line block ×7, first 2 shown]
	ds_write_b64 v144, v[202:203] offset:128
.LBB0_16:
	s_or_b64 exec, exec, s[58:59]
	v_add_f64 v[40:41], v[126:127], v[114:115]
	v_add_f64 v[40:41], v[122:123], v[40:41]
	;; [unrolled: 1-line block ×15, first 2 shown]
	v_add_f64 v[124:125], v[124:125], -v[132:133]
	v_add_f64 v[112:113], v[134:135], v[40:41]
	v_add_f64 v[40:41], v[126:127], v[134:135]
	v_mul_f64 v[126:127], v[124:125], s[20:21]
	v_mul_f64 v[134:135], v[124:125], s[34:35]
	v_mul_f64 v[142:143], v[124:125], s[44:45]
	v_mul_f64 v[146:147], v[124:125], s[30:31]
	v_mul_f64 v[150:151], v[124:125], s[16:17]
	v_mul_f64 v[154:155], v[124:125], s[22:23]
	v_mul_f64 v[158:159], v[124:125], s[26:27]
	v_mul_f64 v[124:125], v[124:125], s[36:37]
	v_fma_f64 v[132:133], v[40:41], s[14:15], -v[126:127]
	v_fmac_f64_e32 v[126:127], s[14:15], v[40:41]
	v_fma_f64 v[140:141], v[40:41], s[12:13], -v[134:135]
	v_fmac_f64_e32 v[134:135], s[12:13], v[40:41]
	v_fma_f64 v[144:145], v[40:41], s[10:11], -v[142:143]
	v_fmac_f64_e32 v[142:143], s[10:11], v[40:41]
	v_fma_f64 v[148:149], v[40:41], s[4:5], -v[146:147]
	v_fmac_f64_e32 v[146:147], s[4:5], v[40:41]
	v_fma_f64 v[152:153], v[40:41], s[18:19], -v[150:151]
	v_fmac_f64_e32 v[150:151], s[18:19], v[40:41]
	v_fma_f64 v[156:157], v[40:41], s[24:25], -v[154:155]
	v_fmac_f64_e32 v[154:155], s[24:25], v[40:41]
	v_fma_f64 v[160:161], v[40:41], s[28:29], -v[158:159]
	v_fmac_f64_e32 v[158:159], s[28:29], v[40:41]
	v_fma_f64 v[162:163], v[40:41], s[38:39], -v[124:125]
	v_fmac_f64_e32 v[124:125], s[38:39], v[40:41]
	v_add_f64 v[120:121], v[120:121], -v[128:129]
	v_add_f64 v[132:133], v[132:133], v[114:115]
	v_add_f64 v[126:127], v[126:127], v[114:115]
	;; [unrolled: 1-line block ×17, first 2 shown]
	v_mul_f64 v[122:123], v[120:121], s[34:35]
	v_fma_f64 v[124:125], v[114:115], s[12:13], -v[122:123]
	v_fmac_f64_e32 v[122:123], s[12:13], v[114:115]
	v_add_f64 v[122:123], v[126:127], v[122:123]
	v_mul_f64 v[126:127], v[120:121], s[30:31]
	v_fma_f64 v[128:129], v[114:115], s[4:5], -v[126:127]
	v_fmac_f64_e32 v[126:127], s[4:5], v[114:115]
	v_mul_f64 v[130:131], v[120:121], s[22:23]
	v_add_f64 v[124:125], v[132:133], v[124:125]
	v_add_f64 v[126:127], v[134:135], v[126:127]
	v_fma_f64 v[132:133], v[114:115], s[24:25], -v[130:131]
	v_fmac_f64_e32 v[130:131], s[24:25], v[114:115]
	v_mul_f64 v[134:135], v[120:121], s[36:37]
	v_add_f64 v[128:129], v[140:141], v[128:129]
	v_add_f64 v[130:131], v[142:143], v[130:131]
	;; [unrolled: 5-line block ×4, first 2 shown]
	v_fma_f64 v[148:149], v[114:115], s[18:19], -v[146:147]
	v_fmac_f64_e32 v[146:147], s[18:19], v[114:115]
	v_mul_f64 v[150:151], v[120:121], s[40:41]
	v_mul_f64 v[120:121], v[120:121], s[42:43]
	v_add_f64 v[104:105], v[104:105], -v[116:117]
	v_add_f64 v[144:145], v[152:153], v[144:145]
	v_add_f64 v[146:147], v[154:155], v[146:147]
	v_fma_f64 v[152:153], v[114:115], s[10:11], -v[150:151]
	v_fmac_f64_e32 v[150:151], s[10:11], v[114:115]
	v_fma_f64 v[154:155], v[114:115], s[14:15], -v[120:121]
	v_fmac_f64_e32 v[120:121], s[14:15], v[114:115]
	v_add_f64 v[106:107], v[106:107], v[118:119]
	v_mul_f64 v[114:115], v[104:105], s[44:45]
	v_fma_f64 v[116:117], v[106:107], s[10:11], -v[114:115]
	v_fmac_f64_e32 v[114:115], s[10:11], v[106:107]
	v_mul_f64 v[118:119], v[104:105], s[22:23]
	v_add_f64 v[40:41], v[40:41], v[120:121]
	v_add_f64 v[114:115], v[114:115], v[122:123]
	v_fma_f64 v[120:121], v[106:107], s[24:25], -v[118:119]
	v_fmac_f64_e32 v[118:119], s[24:25], v[106:107]
	v_mul_f64 v[122:123], v[104:105], s[56:57]
	v_add_f64 v[116:117], v[116:117], v[124:125]
	v_add_f64 v[118:119], v[118:119], v[126:127]
	;; [unrolled: 5-line block ×5, first 2 shown]
	v_fma_f64 v[140:141], v[106:107], s[14:15], -v[134:135]
	v_fmac_f64_e32 v[134:135], s[14:15], v[106:107]
	v_mul_f64 v[142:143], v[104:105], s[30:31]
	v_mul_f64 v[104:105], v[104:105], s[26:27]
	v_add_f64 v[134:135], v[134:135], v[146:147]
	v_fma_f64 v[146:147], v[106:107], s[28:29], -v[104:105]
	v_fmac_f64_e32 v[104:105], s[28:29], v[106:107]
	v_add_f64 v[96:97], v[96:97], -v[108:109]
	v_add_f64 v[40:41], v[104:105], v[40:41]
	v_add_f64 v[98:99], v[98:99], v[110:111]
	v_mul_f64 v[104:105], v[96:97], s[30:31]
	v_add_f64 v[132:133], v[132:133], v[144:145]
	v_fma_f64 v[144:145], v[106:107], s[4:5], -v[142:143]
	v_fmac_f64_e32 v[142:143], s[4:5], v[106:107]
	v_fma_f64 v[106:107], v[98:99], s[4:5], -v[104:105]
	v_fmac_f64_e32 v[104:105], s[4:5], v[98:99]
	v_mul_f64 v[108:109], v[96:97], s[36:37]
	v_add_f64 v[104:105], v[104:105], v[114:115]
	v_fma_f64 v[110:111], v[98:99], s[38:39], -v[108:109]
	v_fmac_f64_e32 v[108:109], s[38:39], v[98:99]
	v_mul_f64 v[114:115], v[96:97], s[50:51]
	v_add_f64 v[106:107], v[106:107], v[116:117]
	v_add_f64 v[108:109], v[108:109], v[118:119]
	v_fma_f64 v[116:117], v[98:99], s[18:19], -v[114:115]
	v_fmac_f64_e32 v[114:115], s[18:19], v[98:99]
	v_mul_f64 v[118:119], v[96:97], s[42:43]
	v_add_f64 v[110:111], v[110:111], v[120:121]
	;; [unrolled: 5-line block ×4, first 2 shown]
	v_add_f64 v[122:123], v[122:123], v[130:131]
	v_fma_f64 v[128:129], v[98:99], s[28:29], -v[126:127]
	v_fmac_f64_e32 v[126:127], s[28:29], v[98:99]
	v_mul_f64 v[130:131], v[96:97], s[54:55]
	v_mul_f64 v[96:97], v[96:97], s[46:47]
	v_add_f64 v[126:127], v[126:127], v[134:135]
	v_fma_f64 v[134:135], v[98:99], s[12:13], -v[96:97]
	v_fmac_f64_e32 v[96:97], s[12:13], v[98:99]
	v_add_f64 v[92:93], v[92:93], -v[100:101]
	v_add_f64 v[40:41], v[96:97], v[40:41]
	v_add_f64 v[94:95], v[102:103], v[94:95]
	v_mul_f64 v[96:97], v[92:93], s[16:17]
	v_add_f64 v[124:125], v[124:125], v[132:133]
	v_fma_f64 v[132:133], v[98:99], s[24:25], -v[130:131]
	v_fmac_f64_e32 v[130:131], s[24:25], v[98:99]
	v_fma_f64 v[98:99], v[94:95], s[18:19], -v[96:97]
	v_fmac_f64_e32 v[96:97], s[18:19], v[94:95]
	v_mul_f64 v[100:101], v[92:93], s[52:53]
	v_add_f64 v[96:97], v[96:97], v[104:105]
	v_fma_f64 v[102:103], v[94:95], s[28:29], -v[100:101]
	v_fmac_f64_e32 v[100:101], s[28:29], v[94:95]
	v_mul_f64 v[104:105], v[92:93], s[46:47]
	v_add_f64 v[98:99], v[98:99], v[106:107]
	v_add_f64 v[100:101], v[100:101], v[108:109]
	v_fma_f64 v[106:107], v[94:95], s[12:13], -v[104:105]
	v_fmac_f64_e32 v[104:105], s[12:13], v[94:95]
	v_mul_f64 v[108:109], v[92:93], s[44:45]
	v_add_f64 v[102:103], v[102:103], v[110:111]
	;; [unrolled: 5-line block ×4, first 2 shown]
	v_add_f64 v[114:115], v[114:115], v[122:123]
	v_fma_f64 v[120:121], v[94:95], s[4:5], -v[118:119]
	v_fmac_f64_e32 v[118:119], s[4:5], v[94:95]
	v_mul_f64 v[122:123], v[92:93], s[20:21]
	v_mul_f64 v[92:93], v[92:93], s[22:23]
	v_add_f64 v[76:77], v[76:77], -v[88:89]
	v_add_f64 v[118:119], v[118:119], v[126:127]
	v_fma_f64 v[126:127], v[94:95], s[24:25], -v[92:93]
	v_fmac_f64_e32 v[92:93], s[24:25], v[94:95]
	v_add_f64 v[78:79], v[78:79], v[90:91]
	v_mul_f64 v[88:89], v[76:77], s[22:23]
	v_add_f64 v[40:41], v[92:93], v[40:41]
	v_fma_f64 v[90:91], v[78:79], s[24:25], -v[88:89]
	v_fmac_f64_e32 v[88:89], s[24:25], v[78:79]
	v_mul_f64 v[92:93], v[76:77], s[50:51]
	v_add_f64 v[116:117], v[116:117], v[124:125]
	v_fma_f64 v[124:125], v[94:95], s[14:15], -v[122:123]
	v_fmac_f64_e32 v[122:123], s[14:15], v[94:95]
	v_add_f64 v[88:89], v[88:89], v[96:97]
	v_fma_f64 v[94:95], v[78:79], s[18:19], -v[92:93]
	v_fmac_f64_e32 v[92:93], s[18:19], v[78:79]
	v_mul_f64 v[96:97], v[76:77], s[20:21]
	v_add_f64 v[90:91], v[90:91], v[98:99]
	v_add_f64 v[92:93], v[92:93], v[100:101]
	v_fma_f64 v[98:99], v[78:79], s[14:15], -v[96:97]
	v_fmac_f64_e32 v[96:97], s[14:15], v[78:79]
	v_mul_f64 v[100:101], v[76:77], s[26:27]
	v_add_f64 v[94:95], v[94:95], v[102:103]
	;; [unrolled: 5-line block ×4, first 2 shown]
	v_add_f64 v[104:105], v[104:105], v[114:115]
	v_fma_f64 v[110:111], v[78:79], s[12:13], -v[108:109]
	v_fmac_f64_e32 v[108:109], s[12:13], v[78:79]
	v_mul_f64 v[114:115], v[76:77], s[36:37]
	v_mul_f64 v[76:77], v[76:77], s[40:41]
	v_add_f64 v[150:151], v[158:159], v[150:151]
	v_add_f64 v[108:109], v[108:109], v[118:119]
	v_fma_f64 v[118:119], v[78:79], s[10:11], -v[76:77]
	v_fmac_f64_e32 v[76:77], s[10:11], v[78:79]
	v_add_f64 v[72:73], v[72:73], -v[80:81]
	v_add_f64 v[148:149], v[156:157], v[148:149]
	v_add_f64 v[142:143], v[142:143], v[150:151]
	;; [unrolled: 1-line block ×4, first 2 shown]
	v_mul_f64 v[76:77], v[72:73], s[26:27]
	v_add_f64 v[64:65], v[68:69], -v[64:65]
	v_add_f64 v[154:155], v[162:163], v[154:155]
	v_add_f64 v[140:141], v[140:141], v[148:149]
	;; [unrolled: 1-line block ×4, first 2 shown]
	v_fma_f64 v[116:117], v[78:79], s[38:39], -v[114:115]
	v_fmac_f64_e32 v[114:115], s[38:39], v[78:79]
	v_fma_f64 v[78:79], v[74:75], s[28:29], -v[76:77]
	v_fmac_f64_e32 v[76:77], s[28:29], v[74:75]
	v_add_f64 v[66:67], v[66:67], v[70:71]
	v_mul_f64 v[68:69], v[64:65], s[36:37]
	v_add_f64 v[152:153], v[160:161], v[152:153]
	v_add_f64 v[146:147], v[146:147], v[154:155]
	v_add_f64 v[128:129], v[128:129], v[140:141]
	v_add_f64 v[122:123], v[122:123], v[130:131]
	v_add_f64 v[76:77], v[76:77], v[88:89]
	v_mul_f64 v[80:81], v[72:73], s[40:41]
	v_fma_f64 v[70:71], v[66:67], s[38:39], -v[68:69]
	v_fmac_f64_e32 v[68:69], s[38:39], v[66:67]
	v_add_f64 v[144:145], v[144:145], v[152:153]
	v_add_f64 v[134:135], v[134:135], v[146:147]
	;; [unrolled: 1-line block ×5, first 2 shown]
	v_fma_f64 v[82:83], v[74:75], s[10:11], -v[80:81]
	v_fmac_f64_e32 v[80:81], s[10:11], v[74:75]
	v_add_f64 v[122:123], v[68:69], v[76:77]
	v_mul_f64 v[68:69], v[64:65], s[42:43]
	v_add_f64 v[132:133], v[132:133], v[144:145]
	v_add_f64 v[126:127], v[126:127], v[134:135]
	;; [unrolled: 1-line block ×4, first 2 shown]
	v_mul_f64 v[88:89], v[72:73], s[30:31]
	v_add_f64 v[120:121], v[70:71], v[78:79]
	v_fma_f64 v[70:71], v[66:67], s[14:15], -v[68:69]
	v_fmac_f64_e32 v[68:69], s[14:15], v[66:67]
	v_add_f64 v[124:125], v[124:125], v[132:133]
	v_add_f64 v[118:119], v[118:119], v[126:127]
	;; [unrolled: 1-line block ×3, first 2 shown]
	v_fma_f64 v[90:91], v[74:75], s[4:5], -v[88:89]
	v_fmac_f64_e32 v[88:89], s[4:5], v[74:75]
	v_add_f64 v[126:127], v[68:69], v[80:81]
	v_mul_f64 v[68:69], v[64:65], s[26:27]
	v_add_f64 v[116:117], v[116:117], v[124:125]
	v_add_f64 v[88:89], v[88:89], v[96:97]
	v_mul_f64 v[92:93], v[72:73], s[54:55]
	v_add_f64 v[124:125], v[70:71], v[82:83]
	v_fma_f64 v[70:71], v[66:67], s[28:29], -v[68:69]
	v_fmac_f64_e32 v[68:69], s[28:29], v[66:67]
	v_add_f64 v[90:91], v[90:91], v[98:99]
	v_fma_f64 v[94:95], v[74:75], s[24:25], -v[92:93]
	v_fmac_f64_e32 v[92:93], s[24:25], v[74:75]
	v_add_f64 v[130:131], v[68:69], v[88:89]
	v_mul_f64 v[68:69], v[64:65], s[46:47]
	v_add_f64 v[92:93], v[92:93], v[100:101]
	v_mul_f64 v[96:97], v[72:73], s[20:21]
	v_add_f64 v[128:129], v[70:71], v[90:91]
	v_fma_f64 v[70:71], v[66:67], s[12:13], -v[68:69]
	v_fmac_f64_e32 v[68:69], s[12:13], v[66:67]
	v_add_f64 v[94:95], v[94:95], v[102:103]
	v_fma_f64 v[98:99], v[74:75], s[14:15], -v[96:97]
	v_fmac_f64_e32 v[96:97], s[14:15], v[74:75]
	v_add_f64 v[134:135], v[68:69], v[92:93]
	v_mul_f64 v[68:69], v[64:65], s[22:23]
	;; [unrolled: 10-line block ×3, first 2 shown]
	v_add_f64 v[100:101], v[100:101], v[108:109]
	v_mul_f64 v[104:105], v[72:73], s[46:47]
	v_add_f64 v[140:141], v[70:71], v[98:99]
	v_fma_f64 v[70:71], v[66:67], s[10:11], -v[68:69]
	v_fmac_f64_e32 v[68:69], s[10:11], v[66:67]
	v_add_f64 v[102:103], v[102:103], v[110:111]
	v_fma_f64 v[106:107], v[74:75], s[12:13], -v[104:105]
	v_fmac_f64_e32 v[104:105], s[12:13], v[74:75]
	v_mul_f64 v[72:73], v[72:73], s[16:17]
	v_add_f64 v[146:147], v[68:69], v[100:101]
	v_mul_f64 v[68:69], v[64:65], s[16:17]
	v_add_f64 v[104:105], v[104:105], v[114:115]
	v_fma_f64 v[108:109], v[74:75], s[18:19], -v[72:73]
	v_fmac_f64_e32 v[72:73], s[18:19], v[74:75]
	v_add_f64 v[144:145], v[70:71], v[102:103]
	v_fma_f64 v[70:71], v[66:67], s[18:19], -v[68:69]
	v_fmac_f64_e32 v[68:69], s[18:19], v[66:67]
	v_mul_f64 v[64:65], v[64:65], s[48:49]
	v_add_f64 v[40:41], v[72:73], v[40:41]
	v_add_f64 v[150:151], v[68:69], v[104:105]
	v_fma_f64 v[68:69], v[66:67], s[4:5], -v[64:65]
	v_fmac_f64_e32 v[64:65], s[4:5], v[66:67]
	v_add_f64 v[154:155], v[64:65], v[40:41]
	v_lshlrev_b32_e32 v40, 3, v184
	v_add_f64 v[106:107], v[106:107], v[116:117]
	v_add3_u32 v116, 0, v40, v185
	v_add_f64 v[108:109], v[108:109], v[118:119]
	v_add_u32_e32 v119, 0x400, v116
	v_add_u32_e32 v118, 0x800, v116
	v_add_f64 v[148:149], v[70:71], v[106:107]
	v_add_f64 v[152:153], v[68:69], v[108:109]
	s_waitcnt lgkmcnt(0)
	; wave barrier
	s_waitcnt lgkmcnt(0)
	v_add3_u32 v117, 0, v185, v40
	ds_read2_b64 v[64:67], v116 offset0:119 offset1:136
	ds_read2_b64 v[80:83], v119 offset0:127 offset1:144
	;; [unrolled: 1-line block ×11, first 2 shown]
	ds_read_b64 v[40:41], v117
	ds_read_b64 v[114:115], v116 offset:3128
	s_waitcnt lgkmcnt(0)
	; wave barrier
	s_waitcnt lgkmcnt(0)
	ds_write2_b64 v187, v[112:113], v[120:121] offset1:1
	ds_write2_b64 v187, v[124:125], v[128:129] offset0:2 offset1:3
	ds_write2_b64 v187, v[132:133], v[140:141] offset0:4 offset1:5
	;; [unrolled: 1-line block ×7, first 2 shown]
	ds_write_b64 v187, v[122:123] offset:128
	s_and_saveexec_b64 s[4:5], s[0:1]
	s_cbranch_execz .LBB0_18
; %bb.17:
	v_add_f64 v[112:113], v[42:43], v[58:59]
	v_add_f64 v[112:113], v[50:51], v[112:113]
	;; [unrolled: 1-line block ×13, first 2 shown]
	s_mov_b32 s30, 0x2a9d6da3
	s_mov_b32 s42, 0x7c9e640b
	;; [unrolled: 1-line block ×3, first 2 shown]
	v_add_f64 v[112:113], v[54:55], v[112:113]
	v_add_f64 v[56:57], v[56:57], -v[84:85]
	s_mov_b32 s31, 0xbfe58eea
	s_mov_b32 s43, 0xbfeca52d
	;; [unrolled: 1-line block ×4, first 2 shown]
	v_add_f64 v[112:113], v[62:63], v[112:113]
	v_add_f64 v[58:59], v[86:87], v[58:59]
	v_mul_f64 v[84:85], v[56:57], s[20:21]
	v_mul_f64 v[120:121], v[56:57], s[30:31]
	;; [unrolled: 1-line block ×4, first 2 shown]
	s_mov_b32 s1, 0x3fb79ee6
	v_mul_f64 v[132:133], v[56:57], s[16:17]
	v_mul_f64 v[140:141], v[56:57], s[22:23]
	;; [unrolled: 1-line block ×4, first 2 shown]
	v_add_f64 v[112:113], v[86:87], v[112:113]
	v_fma_f64 v[86:87], v[58:59], s[14:15], -v[84:85]
	v_fmac_f64_e32 v[84:85], s[14:15], v[58:59]
	v_fma_f64 v[122:123], v[58:59], s[12:13], -v[120:121]
	v_fmac_f64_e32 v[120:121], s[12:13], v[58:59]
	;; [unrolled: 2-line block ×8, first 2 shown]
	v_add_f64 v[48:49], v[48:49], -v[60:61]
	v_add_f64 v[86:87], v[42:43], v[86:87]
	v_add_f64 v[84:85], v[42:43], v[84:85]
	;; [unrolled: 1-line block ×17, first 2 shown]
	v_mul_f64 v[56:57], v[48:49], s[30:31]
	v_fma_f64 v[58:59], v[50:51], s[12:13], -v[56:57]
	v_fmac_f64_e32 v[56:57], s[12:13], v[50:51]
	v_mul_f64 v[60:61], v[48:49], s[34:35]
	v_add_f64 v[56:57], v[56:57], v[84:85]
	v_fma_f64 v[62:63], v[50:51], s[0:1], -v[60:61]
	v_fmac_f64_e32 v[60:61], s[0:1], v[50:51]
	v_mul_f64 v[84:85], v[48:49], s[22:23]
	v_add_f64 v[58:59], v[58:59], v[86:87]
	v_add_f64 v[60:61], v[60:61], v[120:121]
	v_fma_f64 v[86:87], v[50:51], s[24:25], -v[84:85]
	v_fmac_f64_e32 v[84:85], s[24:25], v[50:51]
	v_mul_f64 v[120:121], v[48:49], s[36:37]
	s_mov_b32 s51, 0x3fe0d888
	s_mov_b32 s50, s26
	v_add_f64 v[62:63], v[62:63], v[122:123]
	v_add_f64 v[84:85], v[84:85], v[124:125]
	v_fma_f64 v[122:123], v[50:51], s[38:39], -v[120:121]
	v_fmac_f64_e32 v[120:121], s[38:39], v[50:51]
	v_mul_f64 v[124:125], v[48:49], s[50:51]
	s_mov_b32 s49, 0x3feec746
	s_mov_b32 s48, s16
	;; [unrolled: 7-line block ×3, first 2 shown]
	s_mov_b32 s44, s20
	v_add_f64 v[122:123], v[122:123], v[130:131]
	v_add_f64 v[124:125], v[124:125], v[132:133]
	v_fma_f64 v[130:131], v[50:51], s[18:19], -v[128:129]
	v_fmac_f64_e32 v[128:129], s[18:19], v[50:51]
	v_mul_f64 v[132:133], v[48:49], s[40:41]
	v_mul_f64 v[48:49], v[48:49], s[44:45]
	v_add_f64 v[128:129], v[128:129], v[140:141]
	v_fma_f64 v[140:141], v[50:51], s[14:15], -v[48:49]
	v_fmac_f64_e32 v[48:49], s[14:15], v[50:51]
	v_add_f64 v[36:37], v[36:37], -v[52:53]
	v_add_f64 v[42:43], v[48:49], v[42:43]
	v_add_f64 v[38:39], v[38:39], v[54:55]
	v_mul_f64 v[48:49], v[36:37], s[42:43]
	v_add_f64 v[126:127], v[126:127], v[134:135]
	v_fma_f64 v[134:135], v[50:51], s[10:11], -v[132:133]
	v_fmac_f64_e32 v[132:133], s[10:11], v[50:51]
	v_fma_f64 v[50:51], v[38:39], s[10:11], -v[48:49]
	v_fmac_f64_e32 v[48:49], s[10:11], v[38:39]
	v_mul_f64 v[52:53], v[36:37], s[22:23]
	s_mov_b32 s47, 0x3fc7851a
	s_mov_b32 s46, s36
	v_add_f64 v[48:49], v[48:49], v[56:57]
	v_fma_f64 v[54:55], v[38:39], s[24:25], -v[52:53]
	v_fmac_f64_e32 v[52:53], s[24:25], v[38:39]
	v_mul_f64 v[56:57], v[36:37], s[46:47]
	v_add_f64 v[50:51], v[50:51], v[58:59]
	v_add_f64 v[52:53], v[52:53], v[60:61]
	v_fma_f64 v[58:59], v[38:39], s[38:39], -v[56:57]
	v_fmac_f64_e32 v[56:57], s[38:39], v[38:39]
	v_mul_f64 v[60:61], v[36:37], s[48:49]
	s_mov_b32 s47, 0x3fe58eea
	s_mov_b32 s46, s30
	v_add_f64 v[54:55], v[54:55], v[62:63]
	v_add_f64 v[56:57], v[56:57], v[84:85]
	v_fma_f64 v[62:63], v[38:39], s[18:19], -v[60:61]
	v_fmac_f64_e32 v[60:61], s[18:19], v[38:39]
	v_mul_f64 v[84:85], v[36:37], s[46:47]
	v_add_f64 v[58:59], v[58:59], v[86:87]
	v_add_f64 v[60:61], v[60:61], v[120:121]
	v_fma_f64 v[86:87], v[38:39], s[12:13], -v[84:85]
	v_fmac_f64_e32 v[84:85], s[12:13], v[38:39]
	v_mul_f64 v[120:121], v[36:37], s[20:21]
	;; [unrolled: 5-line block ×3, first 2 shown]
	v_mul_f64 v[36:37], v[36:37], s[26:27]
	v_add_f64 v[28:29], v[28:29], -v[44:45]
	v_add_f64 v[86:87], v[86:87], v[126:127]
	v_add_f64 v[120:121], v[120:121], v[128:129]
	v_fma_f64 v[126:127], v[38:39], s[0:1], -v[124:125]
	v_fmac_f64_e32 v[124:125], s[0:1], v[38:39]
	v_fma_f64 v[128:129], v[38:39], s[28:29], -v[36:37]
	v_fmac_f64_e32 v[36:37], s[28:29], v[38:39]
	v_add_f64 v[30:31], v[46:47], v[30:31]
	v_mul_f64 v[38:39], v[28:29], s[34:35]
	v_add_f64 v[36:37], v[36:37], v[42:43]
	v_fma_f64 v[42:43], v[30:31], s[0:1], -v[38:39]
	v_fmac_f64_e32 v[38:39], s[0:1], v[30:31]
	v_mul_f64 v[44:45], v[28:29], s[36:37]
	v_add_f64 v[38:39], v[38:39], v[48:49]
	v_fma_f64 v[46:47], v[30:31], s[38:39], -v[44:45]
	v_fmac_f64_e32 v[44:45], s[38:39], v[30:31]
	v_mul_f64 v[48:49], v[28:29], s[48:49]
	v_add_f64 v[42:43], v[42:43], v[50:51]
	v_add_f64 v[44:45], v[44:45], v[52:53]
	v_fma_f64 v[50:51], v[30:31], s[18:19], -v[48:49]
	v_fmac_f64_e32 v[48:49], s[18:19], v[30:31]
	v_mul_f64 v[52:53], v[28:29], s[44:45]
	v_add_f64 v[46:47], v[46:47], v[54:55]
	;; [unrolled: 5-line block ×3, first 2 shown]
	v_add_f64 v[52:53], v[52:53], v[60:61]
	v_fma_f64 v[58:59], v[30:31], s[10:11], -v[56:57]
	v_fmac_f64_e32 v[56:57], s[10:11], v[30:31]
	v_mul_f64 v[60:61], v[28:29], s[26:27]
	s_mov_b32 s53, 0x3fe9895b
	s_mov_b32 s52, s22
	v_add_f64 v[54:55], v[54:55], v[62:63]
	v_add_f64 v[56:57], v[56:57], v[84:85]
	v_fma_f64 v[62:63], v[30:31], s[28:29], -v[60:61]
	v_fmac_f64_e32 v[60:61], s[28:29], v[30:31]
	v_mul_f64 v[84:85], v[28:29], s[52:53]
	v_mul_f64 v[28:29], v[28:29], s[46:47]
	v_add_f64 v[20:21], v[20:21], -v[32:33]
	v_add_f64 v[58:59], v[58:59], v[86:87]
	v_add_f64 v[60:61], v[60:61], v[120:121]
	v_fma_f64 v[86:87], v[30:31], s[24:25], -v[84:85]
	v_fmac_f64_e32 v[84:85], s[24:25], v[30:31]
	v_fma_f64 v[120:121], v[30:31], s[12:13], -v[28:29]
	v_fmac_f64_e32 v[28:29], s[12:13], v[30:31]
	v_add_f64 v[22:23], v[22:23], v[34:35]
	v_mul_f64 v[30:31], v[20:21], s[16:17]
	v_fma_f64 v[32:33], v[22:23], s[18:19], -v[30:31]
	v_fmac_f64_e32 v[30:31], s[18:19], v[22:23]
	v_mul_f64 v[34:35], v[20:21], s[50:51]
	v_add_f64 v[28:29], v[28:29], v[36:37]
	v_add_f64 v[30:31], v[30:31], v[38:39]
	v_fma_f64 v[36:37], v[22:23], s[28:29], -v[34:35]
	v_fmac_f64_e32 v[34:35], s[28:29], v[22:23]
	v_mul_f64 v[38:39], v[20:21], s[46:47]
	v_add_f64 v[32:33], v[32:33], v[42:43]
	v_add_f64 v[34:35], v[34:35], v[44:45]
	;; [unrolled: 5-line block ×3, first 2 shown]
	v_fma_f64 v[46:47], v[22:23], s[10:11], -v[44:45]
	v_fmac_f64_e32 v[44:45], s[10:11], v[22:23]
	v_mul_f64 v[48:49], v[20:21], s[36:37]
	s_mov_b32 s43, 0x3fefdd0d
	s_mov_b32 s42, s34
	v_add_f64 v[42:43], v[42:43], v[50:51]
	v_add_f64 v[44:45], v[44:45], v[52:53]
	v_fma_f64 v[50:51], v[22:23], s[38:39], -v[48:49]
	v_fmac_f64_e32 v[48:49], s[38:39], v[22:23]
	v_mul_f64 v[52:53], v[20:21], s[42:43]
	v_add_f64 v[46:47], v[46:47], v[54:55]
	v_add_f64 v[48:49], v[48:49], v[56:57]
	v_fma_f64 v[54:55], v[22:23], s[0:1], -v[52:53]
	v_fmac_f64_e32 v[52:53], s[0:1], v[22:23]
	v_mul_f64 v[56:57], v[20:21], s[20:21]
	v_mul_f64 v[20:21], v[20:21], s[22:23]
	v_add_f64 v[16:17], v[16:17], -v[24:25]
	v_add_f64 v[50:51], v[50:51], v[58:59]
	v_add_f64 v[52:53], v[52:53], v[60:61]
	v_fma_f64 v[58:59], v[22:23], s[14:15], -v[56:57]
	v_fmac_f64_e32 v[56:57], s[14:15], v[22:23]
	v_fma_f64 v[60:61], v[22:23], s[24:25], -v[20:21]
	v_fmac_f64_e32 v[20:21], s[24:25], v[22:23]
	v_add_f64 v[18:19], v[26:27], v[18:19]
	v_mul_f64 v[22:23], v[16:17], s[22:23]
	v_fma_f64 v[24:25], v[18:19], s[24:25], -v[22:23]
	v_fmac_f64_e32 v[22:23], s[24:25], v[18:19]
	v_mul_f64 v[26:27], v[16:17], s[48:49]
	v_add_f64 v[20:21], v[20:21], v[28:29]
	v_add_f64 v[22:23], v[22:23], v[30:31]
	v_fma_f64 v[28:29], v[18:19], s[18:19], -v[26:27]
	v_fmac_f64_e32 v[26:27], s[18:19], v[18:19]
	v_mul_f64 v[30:31], v[16:17], s[20:21]
	v_add_f64 v[24:25], v[24:25], v[32:33]
	v_add_f64 v[26:27], v[26:27], v[34:35]
	;; [unrolled: 5-line block ×4, first 2 shown]
	v_fma_f64 v[42:43], v[18:19], s[0:1], -v[38:39]
	v_fmac_f64_e32 v[38:39], s[0:1], v[18:19]
	v_mul_f64 v[44:45], v[16:17], s[30:31]
	v_add_f64 v[8:9], v[8:9], -v[12:13]
	v_add_f64 v[36:37], v[36:37], v[46:47]
	v_add_f64 v[38:39], v[38:39], v[48:49]
	v_fma_f64 v[46:47], v[18:19], s[12:13], -v[44:45]
	v_fmac_f64_e32 v[44:45], s[12:13], v[18:19]
	v_mul_f64 v[48:49], v[16:17], s[36:37]
	v_mul_f64 v[16:17], v[16:17], s[40:41]
	v_add_f64 v[10:11], v[14:15], v[10:11]
	v_mul_f64 v[12:13], v[8:9], s[26:27]
	v_add_f64 v[42:43], v[42:43], v[50:51]
	v_add_f64 v[44:45], v[44:45], v[52:53]
	v_fma_f64 v[50:51], v[18:19], s[38:39], -v[48:49]
	v_fmac_f64_e32 v[48:49], s[38:39], v[18:19]
	v_fma_f64 v[52:53], v[18:19], s[10:11], -v[16:17]
	v_fmac_f64_e32 v[16:17], s[10:11], v[18:19]
	;; [unrolled: 2-line block ×3, first 2 shown]
	v_mul_f64 v[18:19], v[8:9], s[40:41]
	v_add_f64 v[16:17], v[16:17], v[20:21]
	v_add_f64 v[12:13], v[12:13], v[22:23]
	v_fma_f64 v[20:21], v[10:11], s[10:11], -v[18:19]
	v_fmac_f64_e32 v[18:19], s[10:11], v[10:11]
	v_mul_f64 v[22:23], v[8:9], s[34:35]
	v_add_f64 v[14:15], v[14:15], v[24:25]
	v_add_f64 v[18:19], v[18:19], v[26:27]
	v_fma_f64 v[24:25], v[10:11], s[0:1], -v[22:23]
	v_fmac_f64_e32 v[22:23], s[0:1], v[10:11]
	;; [unrolled: 5-line block ×4, first 2 shown]
	v_mul_f64 v[34:35], v[8:9], s[36:37]
	v_add_f64 v[0:1], v[0:1], -v[4:5]
	v_add_f64 v[28:29], v[28:29], v[36:37]
	v_add_f64 v[30:31], v[30:31], v[38:39]
	v_fma_f64 v[36:37], v[10:11], s[38:39], -v[34:35]
	v_fmac_f64_e32 v[34:35], s[38:39], v[10:11]
	v_mul_f64 v[38:39], v[8:9], s[46:47]
	v_mul_f64 v[8:9], v[8:9], s[16:17]
	v_add_f64 v[2:3], v[6:7], v[2:3]
	v_mul_f64 v[4:5], v[0:1], s[36:37]
	v_add_f64 v[32:33], v[32:33], v[42:43]
	v_add_f64 v[34:35], v[34:35], v[44:45]
	v_fma_f64 v[42:43], v[10:11], s[12:13], -v[38:39]
	v_fmac_f64_e32 v[38:39], s[12:13], v[10:11]
	v_fma_f64 v[44:45], v[10:11], s[18:19], -v[8:9]
	v_fmac_f64_e32 v[8:9], s[18:19], v[10:11]
	;; [unrolled: 2-line block ×3, first 2 shown]
	v_mul_f64 v[10:11], v[0:1], s[44:45]
	v_add_f64 v[6:7], v[6:7], v[14:15]
	v_add_f64 v[4:5], v[4:5], v[12:13]
	v_fma_f64 v[12:13], v[2:3], s[14:15], -v[10:11]
	v_fmac_f64_e32 v[10:11], s[14:15], v[2:3]
	v_mul_f64 v[14:15], v[0:1], s[26:27]
	v_add_f64 v[130:131], v[130:131], v[142:143]
	v_add_f64 v[134:135], v[134:135], v[146:147]
	v_add_f64 v[132:133], v[132:133], v[144:145]
	v_add_f64 v[140:141], v[140:141], v[148:149]
	v_add_f64 v[8:9], v[8:9], v[16:17]
	v_add_f64 v[10:11], v[10:11], v[18:19]
	v_fma_f64 v[16:17], v[2:3], s[28:29], -v[14:15]
	v_fmac_f64_e32 v[14:15], s[28:29], v[2:3]
	v_mul_f64 v[18:19], v[0:1], s[46:47]
	v_add_f64 v[122:123], v[122:123], v[130:131]
	v_add_f64 v[126:127], v[126:127], v[134:135]
	v_add_f64 v[124:125], v[124:125], v[132:133]
	v_add_f64 v[128:129], v[128:129], v[140:141]
	;; [unrolled: 9-line block ×4, first 2 shown]
	v_add_f64 v[20:21], v[20:21], v[28:29]
	v_add_f64 v[22:23], v[22:23], v[30:31]
	v_fma_f64 v[28:29], v[2:3], s[10:11], -v[26:27]
	v_fmac_f64_e32 v[26:27], s[10:11], v[2:3]
	v_mul_f64 v[30:31], v[0:1], s[16:17]
	v_mul_f64 v[0:1], v[0:1], s[42:43]
	v_add_f64 v[46:47], v[46:47], v[54:55]
	v_add_f64 v[50:51], v[50:51], v[58:59]
	;; [unrolled: 1-line block ×6, first 2 shown]
	v_fma_f64 v[32:33], v[2:3], s[18:19], -v[30:31]
	v_fmac_f64_e32 v[30:31], s[18:19], v[2:3]
	v_fma_f64 v[34:35], v[2:3], s[0:1], -v[0:1]
	v_fmac_f64_e32 v[0:1], s[0:1], v[2:3]
	v_mul_u32_u24_e32 v2, 0x88, v186
	v_add_f64 v[36:37], v[36:37], v[46:47]
	v_add_f64 v[42:43], v[42:43], v[50:51]
	;; [unrolled: 1-line block ×4, first 2 shown]
	v_add3_u32 v2, 0, v2, v185
	v_add_f64 v[28:29], v[28:29], v[36:37]
	v_add_f64 v[32:33], v[32:33], v[42:43]
	;; [unrolled: 1-line block ×5, first 2 shown]
	ds_write2_b64 v2, v[112:113], v[6:7] offset1:1
	ds_write2_b64 v2, v[12:13], v[16:17] offset0:2 offset1:3
	ds_write2_b64 v2, v[20:21], v[24:25] offset0:4 offset1:5
	;; [unrolled: 1-line block ×7, first 2 shown]
	ds_write_b64 v2, v[4:5] offset:128
.LBB0_18:
	s_or_b64 exec, exec, s[4:5]
	v_lshlrev_b32_e32 v112, 1, v184
	v_mov_b32_e32 v113, 0
	v_lshl_add_u64 v[8:9], v[112:113], 4, s[8:9]
	v_add_u32_e32 v112, 34, v184
	s_movk_i32 s0, 0xf1
	s_waitcnt lgkmcnt(0)
	; wave barrier
	s_waitcnt lgkmcnt(0)
	global_load_dwordx4 v[4:7], v[8:9], off
	global_load_dwordx4 v[0:3], v[8:9], off offset:16
	v_mul_lo_u16_sdwa v8, v112, s0 dst_sel:DWORD dst_unused:UNUSED_PAD src0_sel:BYTE_0 src1_sel:DWORD
	v_lshrrev_b16_e32 v8, 12, v8
	v_mul_lo_u16_e32 v8, 17, v8
	v_mov_b32_e32 v42, 5
	v_sub_u16_e32 v174, v112, v8
	v_lshlrev_b32_sdwa v16, v42, v174 dst_sel:DWORD dst_unused:UNUSED_PAD src0_sel:DWORD src1_sel:BYTE_0
	global_load_dwordx4 v[8:11], v16, s[8:9]
	global_load_dwordx4 v[12:15], v16, s[8:9] offset:16
	v_add_u16_e32 v16, 51, v184
	v_mul_lo_u16_sdwa v17, v16, s0 dst_sel:DWORD dst_unused:UNUSED_PAD src0_sel:BYTE_0 src1_sel:DWORD
	v_lshrrev_b16_e32 v17, 12, v17
	v_mul_lo_u16_e32 v17, 17, v17
	v_sub_u16_e32 v175, v16, v17
	v_lshlrev_b32_sdwa v24, v42, v175 dst_sel:DWORD dst_unused:UNUSED_PAD src0_sel:DWORD src1_sel:BYTE_0
	global_load_dwordx4 v[16:19], v24, s[8:9]
	global_load_dwordx4 v[20:23], v24, s[8:9] offset:16
	v_add_u16_e32 v24, 0x44, v184
	v_mul_lo_u16_sdwa v25, v24, s0 dst_sel:DWORD dst_unused:UNUSED_PAD src0_sel:BYTE_0 src1_sel:DWORD
	v_lshrrev_b16_e32 v25, 12, v25
	v_mul_lo_u16_e32 v25, 17, v25
	;; [unrolled: 8-line block ×5, first 2 shown]
	v_sub_u16_e32 v179, v43, v44
	v_lshlrev_b32_sdwa v42, v42, v179 dst_sel:DWORD dst_unused:UNUSED_PAD src0_sel:DWORD src1_sel:BYTE_0
	global_load_dwordx4 v[124:127], v42, s[8:9]
	global_load_dwordx4 v[128:131], v42, s[8:9] offset:16
	ds_read2_b64 v[44:47], v116 offset0:119 offset1:136
	ds_read2_b64 v[132:135], v119 offset0:127 offset1:144
	;; [unrolled: 1-line block ×11, first 2 shown]
	ds_read_b64 v[60:61], v117
	ds_read_b64 v[42:43], v116 offset:3128
	s_mov_b32 s0, 0xe8584caa
	s_mov_b32 s1, 0xbfebb67a
	;; [unrolled: 1-line block ×4, first 2 shown]
	s_waitcnt lgkmcnt(0)
	; wave barrier
	s_waitcnt vmcnt(13) lgkmcnt(0)
	v_mul_f64 v[62:63], v[46:47], v[6:7]
	v_mul_f64 v[164:165], v[66:67], v[6:7]
	s_waitcnt vmcnt(12)
	v_mul_f64 v[166:167], v[134:135], v[2:3]
	v_mul_f64 v[168:169], v[82:83], v[2:3]
	;; [unrolled: 1-line block ×6, first 2 shown]
	v_fmac_f64_e32 v[62:63], v[66:67], v[4:5]
	v_fma_f64 v[46:47], v[46:47], v[4:5], -v[164:165]
	v_fmac_f64_e32 v[166:167], v[82:83], v[0:1]
	v_fma_f64 v[66:67], v[134:135], v[0:1], -v[168:169]
	;; [unrolled: 2-line block ×4, first 2 shown]
	s_waitcnt vmcnt(11)
	v_mul_f64 v[2:3], v[142:143], v[10:11]
	v_mul_f64 v[6:7], v[110:111], v[10:11]
	v_fmac_f64_e32 v[2:3], v[110:111], v[8:9]
	v_fma_f64 v[6:7], v[142:143], v[8:9], -v[6:7]
	s_waitcnt vmcnt(10)
	v_mul_f64 v[8:9], v[146:147], v[14:15]
	v_mul_f64 v[10:11], v[106:107], v[14:15]
	v_fmac_f64_e32 v[8:9], v[106:107], v[12:13]
	v_fma_f64 v[10:11], v[146:147], v[12:13], -v[10:11]
	;; [unrolled: 5-line block ×8, first 2 shown]
	s_waitcnt vmcnt(3)
	v_mul_f64 v[36:37], v[158:159], v[86:87]
	v_mul_f64 v[38:39], v[94:95], v[86:87]
	s_waitcnt vmcnt(2)
	v_mul_f64 v[82:83], v[162:163], v[122:123]
	v_fmac_f64_e32 v[36:37], v[94:95], v[84:85]
	v_fma_f64 v[38:39], v[158:159], v[84:85], -v[38:39]
	v_fmac_f64_e32 v[82:83], v[90:91], v[120:121]
	v_mul_f64 v[84:85], v[90:91], v[122:123]
	s_waitcnt vmcnt(0)
	v_mul_f64 v[90:91], v[114:115], v[130:131]
	v_add_f64 v[92:93], v[62:63], v[166:167]
	v_mul_f64 v[88:89], v[42:43], v[130:131]
	v_fma_f64 v[42:43], v[42:43], v[128:129], -v[90:91]
	v_add_f64 v[90:91], v[40:41], v[62:63]
	v_fmac_f64_e32 v[40:41], -0.5, v[92:93]
	v_add_f64 v[92:93], v[46:47], -v[66:67]
	v_fma_f64 v[94:95], s[0:1], v[92:93], v[40:41]
	v_fmac_f64_e32 v[40:41], s[4:5], v[92:93]
	v_add_f64 v[92:93], v[60:61], v[46:47]
	v_add_f64 v[46:47], v[46:47], v[66:67]
	;; [unrolled: 1-line block ×3, first 2 shown]
	v_fmac_f64_e32 v[60:61], -0.5, v[46:47]
	v_add_f64 v[46:47], v[62:63], -v[166:167]
	v_add_f64 v[66:67], v[170:171], v[172:173]
	v_fma_f64 v[62:63], s[4:5], v[46:47], v[60:61]
	v_fmac_f64_e32 v[60:61], s[0:1], v[46:47]
	v_add_f64 v[46:47], v[76:77], v[170:171]
	v_fma_f64 v[66:67], -0.5, v[66:67], v[76:77]
	v_add_f64 v[76:77], v[4:5], -v[0:1]
	v_fma_f64 v[96:97], s[0:1], v[76:77], v[66:67]
	v_fmac_f64_e32 v[66:67], s[4:5], v[76:77]
	v_add_f64 v[76:77], v[56:57], v[4:5]
	v_add_f64 v[76:77], v[76:77], v[0:1]
	;; [unrolled: 1-line block ×3, first 2 shown]
	v_fma_f64 v[56:57], -0.5, v[0:1], v[56:57]
	v_add_f64 v[0:1], v[170:171], -v[172:173]
	v_add_f64 v[4:5], v[2:3], v[8:9]
	v_fma_f64 v[98:99], s[4:5], v[0:1], v[56:57]
	v_fmac_f64_e32 v[56:57], s[0:1], v[0:1]
	v_add_f64 v[0:1], v[78:79], v[2:3]
	v_fmac_f64_e32 v[78:79], -0.5, v[4:5]
	v_add_f64 v[4:5], v[6:7], -v[10:11]
	v_fma_f64 v[100:101], s[0:1], v[4:5], v[78:79]
	v_fmac_f64_e32 v[78:79], s[4:5], v[4:5]
	v_add_f64 v[4:5], v[58:59], v[6:7]
	v_add_f64 v[102:103], v[4:5], v[10:11]
	;; [unrolled: 1-line block ×3, first 2 shown]
	v_fmac_f64_e32 v[58:59], -0.5, v[4:5]
	v_add_f64 v[4:5], v[12:13], v[16:17]
	v_fma_f64 v[4:5], -0.5, v[4:5], v[72:73]
	v_add_f64 v[6:7], v[14:15], -v[18:19]
	v_add_f64 v[0:1], v[0:1], v[8:9]
	v_add_f64 v[2:3], v[2:3], -v[8:9]
	v_fma_f64 v[8:9], s[0:1], v[6:7], v[4:5]
	v_fmac_f64_e32 v[4:5], s[4:5], v[6:7]
	v_add_f64 v[6:7], v[52:53], v[14:15]
	v_fma_f64 v[104:105], s[4:5], v[2:3], v[58:59]
	v_fmac_f64_e32 v[58:59], s[0:1], v[2:3]
	v_add_f64 v[2:3], v[72:73], v[12:13]
	v_add_f64 v[72:73], v[6:7], v[18:19]
	;; [unrolled: 1-line block ×3, first 2 shown]
	v_fma_f64 v[52:53], -0.5, v[6:7], v[52:53]
	v_add_f64 v[6:7], v[12:13], -v[16:17]
	v_add_f64 v[10:11], v[20:21], v[24:25]
	v_fma_f64 v[106:107], s[4:5], v[6:7], v[52:53]
	v_fmac_f64_e32 v[52:53], s[0:1], v[6:7]
	v_add_f64 v[6:7], v[74:75], v[20:21]
	v_fmac_f64_e32 v[74:75], -0.5, v[10:11]
	v_add_f64 v[10:11], v[22:23], -v[26:27]
	v_fma_f64 v[12:13], s[0:1], v[10:11], v[74:75]
	v_fmac_f64_e32 v[74:75], s[4:5], v[10:11]
	v_add_f64 v[10:11], v[54:55], v[22:23]
	v_add_f64 v[14:15], v[28:29], v[32:33]
	;; [unrolled: 1-line block ×5, first 2 shown]
	v_fma_f64 v[14:15], -0.5, v[14:15], v[68:69]
	v_add_f64 v[16:17], v[30:31], -v[34:35]
	v_fmac_f64_e32 v[54:55], -0.5, v[10:11]
	v_add_f64 v[10:11], v[20:21], -v[24:25]
	v_fma_f64 v[18:19], s[0:1], v[16:17], v[14:15]
	v_fmac_f64_e32 v[14:15], s[4:5], v[16:17]
	v_add_f64 v[16:17], v[48:49], v[30:31]
	v_fma_f64 v[110:111], s[4:5], v[10:11], v[54:55]
	v_fmac_f64_e32 v[54:55], s[0:1], v[10:11]
	v_add_f64 v[10:11], v[68:69], v[28:29]
	v_add_f64 v[68:69], v[16:17], v[34:35]
	;; [unrolled: 1-line block ×3, first 2 shown]
	v_fma_f64 v[84:85], v[162:163], v[120:121], -v[84:85]
	v_fma_f64 v[48:49], -0.5, v[16:17], v[48:49]
	v_add_f64 v[16:17], v[28:29], -v[32:33]
	v_add_f64 v[20:21], v[36:37], v[82:83]
	v_fmac_f64_e32 v[88:89], v[114:115], v[128:129]
	v_fma_f64 v[114:115], s[4:5], v[16:17], v[48:49]
	v_fmac_f64_e32 v[48:49], s[0:1], v[16:17]
	v_add_f64 v[16:17], v[70:71], v[36:37]
	v_fmac_f64_e32 v[70:71], -0.5, v[20:21]
	v_add_f64 v[20:21], v[38:39], -v[84:85]
	v_mul_f64 v[86:87], v[132:133], v[126:127]
	v_fma_f64 v[22:23], s[0:1], v[20:21], v[70:71]
	v_fmac_f64_e32 v[70:71], s[4:5], v[20:21]
	v_add_f64 v[20:21], v[50:51], v[38:39]
	v_fmac_f64_e32 v[86:87], v[80:81], v[124:125]
	v_mul_f64 v[80:81], v[80:81], v[126:127]
	v_add_f64 v[120:121], v[20:21], v[84:85]
	v_add_f64 v[20:21], v[38:39], v[84:85]
	v_fma_f64 v[80:81], v[132:133], v[124:125], -v[80:81]
	v_add_f64 v[6:7], v[6:7], v[24:25]
	v_fmac_f64_e32 v[50:51], -0.5, v[20:21]
	v_add_f64 v[20:21], v[36:37], -v[82:83]
	v_add_f64 v[24:25], v[86:87], v[88:89]
	v_add_f64 v[16:17], v[16:17], v[82:83]
	v_fma_f64 v[82:83], s[4:5], v[20:21], v[50:51]
	v_fmac_f64_e32 v[50:51], s[0:1], v[20:21]
	v_add_f64 v[20:21], v[64:65], v[86:87]
	v_fmac_f64_e32 v[64:65], -0.5, v[24:25]
	v_add_f64 v[24:25], v[80:81], -v[42:43]
	v_fma_f64 v[26:27], s[0:1], v[24:25], v[64:65]
	v_fmac_f64_e32 v[64:65], s[4:5], v[24:25]
	v_add_f64 v[24:25], v[44:45], v[80:81]
	v_add_f64 v[84:85], v[24:25], v[42:43]
	;; [unrolled: 1-line block ×3, first 2 shown]
	v_fmac_f64_e32 v[44:45], -0.5, v[24:25]
	v_add_f64 v[24:25], v[86:87], -v[88:89]
	v_fma_f64 v[80:81], s[4:5], v[24:25], v[44:45]
	v_fmac_f64_e32 v[44:45], s[0:1], v[24:25]
	v_mov_b32_e32 v24, 3
	v_add_f64 v[90:91], v[90:91], v[166:167]
	v_add_f64 v[46:47], v[46:47], v[172:173]
	v_lshlrev_b32_sdwa v25, v24, v174 dst_sel:DWORD dst_unused:UNUSED_PAD src0_sel:DWORD src1_sel:BYTE_0
	ds_write2_b64 v116, v[90:91], v[94:95] offset1:17
	ds_write2_b64 v116, v[40:41], v[46:47] offset0:34 offset1:51
	ds_write2_b64 v116, v[96:97], v[66:67] offset0:68 offset1:85
	v_add3_u32 v46, 0, v25, v185
	ds_write2_b64 v46, v[0:1], v[100:101] offset0:102 offset1:119
	ds_write_b64 v46, v[78:79] offset:1088
	v_lshlrev_b32_sdwa v0, v24, v175 dst_sel:DWORD dst_unused:UNUSED_PAD src0_sel:DWORD src1_sel:BYTE_0
	v_add3_u32 v47, 0, v0, v185
	v_lshlrev_b32_sdwa v0, v24, v176 dst_sel:DWORD dst_unused:UNUSED_PAD src0_sel:DWORD src1_sel:BYTE_0
	v_add3_u32 v66, 0, v0, v185
	;; [unrolled: 2-line block ×3, first 2 shown]
	v_lshlrev_b32_sdwa v0, v24, v178 dst_sel:DWORD dst_unused:UNUSED_PAD src0_sel:DWORD src1_sel:BYTE_0
	ds_write2_b64 v47, v[2:3], v[8:9] offset0:153 offset1:170
	ds_write_b64 v47, v[4:5] offset:1496
	ds_write2_b64 v66, v[6:7], v[12:13] offset0:204 offset1:221
	ds_write_b64 v66, v[74:75] offset:1904
	v_add3_u32 v75, 0, v0, v185
	v_add_f64 v[10:11], v[10:11], v[32:33]
	v_add_u32_e32 v74, 0x400, v67
	v_add_u32_e32 v78, 0x800, v75
	v_lshlrev_b32_sdwa v0, v24, v179 dst_sel:DWORD dst_unused:UNUSED_PAD src0_sel:DWORD src1_sel:BYTE_0
	ds_write2_b64 v74, v[10:11], v[18:19] offset0:127 offset1:144
	ds_write_b64 v67, v[14:15] offset:2312
	ds_write2_b64 v78, v[16:17], v[22:23] offset0:50 offset1:67
	ds_write_b64 v75, v[70:71] offset:2720
	v_add3_u32 v70, 0, v0, v185
	v_add_f64 v[20:21], v[20:21], v[88:89]
	v_add_u32_e32 v71, 0x800, v70
	ds_write2_b64 v71, v[20:21], v[26:27] offset0:101 offset1:118
	ds_write_b64 v70, v[64:65] offset:3128
	s_waitcnt lgkmcnt(0)
	; wave barrier
	s_waitcnt lgkmcnt(0)
	ds_read2_b64 v[20:23], v116 offset0:51 offset1:68
	ds_read2_b64 v[4:7], v116 offset0:85 offset1:102
	;; [unrolled: 1-line block ×11, first 2 shown]
	ds_read_b64 v[96:97], v117
	ds_read_b64 v[100:101], v116 offset:3128
	s_waitcnt lgkmcnt(0)
	; wave barrier
	s_waitcnt lgkmcnt(0)
	ds_write2_b64 v116, v[92:93], v[62:63] offset1:17
	ds_write2_b64 v116, v[60:61], v[76:77] offset0:34 offset1:51
	ds_write2_b64 v116, v[98:99], v[56:57] offset0:68 offset1:85
	;; [unrolled: 1-line block ×3, first 2 shown]
	ds_write_b64 v46, v[58:59] offset:1088
	ds_write2_b64 v47, v[72:73], v[106:107] offset0:153 offset1:170
	ds_write_b64 v47, v[52:53] offset:1496
	ds_write2_b64 v66, v[108:109], v[110:111] offset0:204 offset1:221
	;; [unrolled: 2-line block ×5, first 2 shown]
	ds_write_b64 v70, v[44:45] offset:3128
	s_waitcnt lgkmcnt(0)
	; wave barrier
	s_waitcnt lgkmcnt(0)
	s_and_saveexec_b64 s[0:1], vcc
	s_cbranch_execz .LBB0_20
; %bb.19:
	v_mul_u32_u24_e32 v44, 7, v112
	v_lshlrev_b32_e32 v44, 4, v44
	global_load_dwordx4 v[64:67], v44, s[8:9] offset:592
	global_load_dwordx4 v[68:71], v44, s[8:9] offset:560
	;; [unrolled: 1-line block ×7, first 2 shown]
	v_mul_lo_u32 v92, s3, v138
	v_mul_lo_u32 v93, s2, v139
	v_mad_u64_u32 v[98:99], s[0:1], s2, v138, 0
	v_add_u32_e32 v170, 0x800, v116
	ds_read2_b64 v[52:55], v116 offset0:17 offset1:34
	ds_read2_b64 v[56:59], v116 offset0:221 offset1:238
	;; [unrolled: 1-line block ×5, first 2 shown]
	ds_read_b64 v[114:115], v116 offset:3128
	ds_read_b64 v[102:103], v117
	v_add3_u32 v99, v99, v93, v92
	ds_read2_b64 v[104:107], v170 offset0:67 offset1:84
	ds_read2_b64 v[92:95], v170 offset0:33 offset1:50
	v_mov_b32_e32 v108, 0xffffff89
	v_mad_u32_u24 v112, v112, 7, v108
	v_lshl_add_u64 v[134:135], v[112:113], 4, s[8:9]
	global_load_dwordx4 v[108:111], v[134:135], off offset:576
	global_load_dwordx4 v[118:121], v[134:135], off offset:560
	;; [unrolled: 1-line block ×7, first 2 shown]
	s_mov_b32 s0, 0x667f3bcd
	s_mov_b32 s1, 0x3fe6a09e
	;; [unrolled: 1-line block ×4, first 2 shown]
	ds_read2_b64 v[170:173], v170 offset0:101 offset1:118
	s_waitcnt vmcnt(13)
	v_mul_f64 v[134:135], v[34:35], v[66:67]
	s_waitcnt vmcnt(12)
	v_mul_f64 v[146:147], v[38:39], v[68:69]
	;; [unrolled: 2-line block ×7, first 2 shown]
	s_waitcnt lgkmcnt(6)
	v_mul_f64 v[78:79], v[44:45], v[78:79]
	s_waitcnt lgkmcnt(1)
	v_mul_f64 v[90:91], v[92:93], v[90:91]
	v_mul_f64 v[0:1], v[0:1], v[82:83]
	;; [unrolled: 1-line block ×6, first 2 shown]
	v_fma_f64 v[58:59], v[58:59], v[64:65], -v[134:135]
	v_fmac_f64_e32 v[146:147], v[62:63], v[70:71]
	v_fmac_f64_e32 v[148:149], v[106:107], v[74:75]
	v_fma_f64 v[74:75], v[44:45], v[76:77], -v[150:151]
	v_fma_f64 v[44:45], v[92:93], v[88:89], -v[152:153]
	v_fmac_f64_e32 v[154:155], v[48:49], v[82:83]
	v_fmac_f64_e32 v[156:157], v[114:115], v[86:87]
	;; [unrolled: 1-line block ×4, first 2 shown]
	v_fma_f64 v[0:1], v[48:49], v[80:81], -v[0:1]
	v_fma_f64 v[4:5], v[114:115], v[84:85], -v[100:101]
	v_fmac_f64_e32 v[66:67], v[34:35], v[64:65]
	v_fma_f64 v[8:9], v[62:63], v[68:69], -v[38:39]
	v_fma_f64 v[34:35], v[106:107], v[72:73], -v[42:43]
	v_add_f64 v[38:39], v[54:55], -v[58:59]
	v_add_f64 v[48:49], v[146:147], -v[148:149]
	;; [unrolled: 1-line block ×8, first 2 shown]
	v_add_f64 v[84:85], v[80:81], v[4:5]
	v_fma_f64 v[44:45], s[0:1], v[82:83], v[68:69]
	v_fma_f64 v[54:55], v[54:55], 2.0, -v[38:39]
	v_fmac_f64_e32 v[44:45], s[2:3], v[84:85]
	v_fma_f64 v[0:1], v[0:1], 2.0, -v[4:5]
	v_fma_f64 v[4:5], v[38:39], 2.0, -v[68:69]
	v_fma_f64 v[38:39], v[58:59], 2.0, -v[82:83]
	v_add_f64 v[66:67], v[30:31], -v[66:67]
	v_add_f64 v[34:35], v[8:9], -v[34:35]
	v_fma_f64 v[72:73], v[68:69], 2.0, -v[44:45]
	v_fma_f64 v[88:89], v[74:75], 2.0, -v[58:59]
	v_fma_f64 v[68:69], s[2:3], v[38:39], v[4:5]
	v_fma_f64 v[58:59], v[80:81], 2.0, -v[84:85]
	v_add_f64 v[86:87], v[66:67], v[34:35]
	v_fmac_f64_e32 v[68:69], s[2:3], v[58:59]
	v_fma_f64 v[62:63], v[154:155], 2.0, -v[42:43]
	v_fma_f64 v[42:43], s[0:1], v[84:85], v[86:87]
	v_fma_f64 v[84:85], v[4:5], 2.0, -v[68:69]
	v_fma_f64 v[4:5], v[66:67], 2.0, -v[86:87]
	;; [unrolled: 1-line block ×5, first 2 shown]
	v_fma_f64 v[66:67], s[2:3], v[58:59], v[4:5]
	v_fma_f64 v[34:35], v[78:79], 2.0, -v[80:81]
	v_add_f64 v[8:9], v[54:55], -v[8:9]
	v_add_f64 v[48:49], v[30:31], -v[48:49]
	;; [unrolled: 1-line block ×3, first 2 shown]
	v_fmac_f64_e32 v[66:67], s[0:1], v[38:39]
	v_fmac_f64_e32 v[42:43], s[0:1], v[82:83]
	v_add_f64 v[78:79], v[34:35], -v[62:63]
	v_add_f64 v[62:63], v[48:49], v[0:1]
	v_fma_f64 v[82:83], v[4:5], 2.0, -v[66:67]
	v_fma_f64 v[4:5], v[54:55], 2.0, -v[8:9]
	;; [unrolled: 1-line block ×3, first 2 shown]
	v_add_f64 v[80:81], v[4:5], -v[0:1]
	v_fma_f64 v[88:89], v[4:5], 2.0, -v[80:81]
	v_fma_f64 v[4:5], v[34:35], 2.0, -v[78:79]
	v_mul_u32_u24_e32 v35, 7, v184
	v_lshlrev_b32_e32 v38, 4, v35
	global_load_dwordx4 v[154:157], v38, s[8:9] offset:560
	global_load_dwordx4 v[162:165], v38, s[8:9] offset:544
	;; [unrolled: 1-line block ×7, first 2 shown]
	ds_read2_b64 v[90:93], v116 offset0:51 offset1:68
	v_add_u32_e32 v34, 0x400, v116
	ds_read2_b64 v[150:153], v34 offset0:127 offset1:144
	ds_read2_b64 v[114:117], v116 offset0:153 offset1:170
	v_fma_f64 v[0:1], v[30:31], 2.0, -v[48:49]
	s_waitcnt vmcnt(11)
	v_mul_f64 v[30:31], v[22:23], v[124:125]
	s_waitcnt lgkmcnt(2)
	v_fma_f64 v[54:55], v[92:93], v[122:123], -v[30:31]
	s_waitcnt vmcnt(7)
	v_mul_f64 v[30:31], v[26:27], v[144:145]
	v_add_f64 v[64:65], v[8:9], -v[78:79]
	v_add_f64 v[78:79], v[0:1], -v[4:5]
	v_mul_f64 v[4:5], v[36:37], v[118:119]
	s_waitcnt lgkmcnt(1)
	v_fma_f64 v[30:31], v[152:153], v[142:143], -v[30:31]
	v_mul_f64 v[36:37], v[36:37], v[120:121]
	v_fma_f64 v[70:71], v[86:87], 2.0, -v[42:43]
	v_fma_f64 v[76:77], v[8:9], 2.0, -v[64:65]
	;; [unrolled: 1-line block ×3, first 2 shown]
	v_mul_f64 v[0:1], v[32:33], v[140:141]
	v_fmac_f64_e32 v[4:5], v[60:61], v[120:121]
	v_mul_f64 v[8:9], v[40:41], v[130:131]
	v_add_f64 v[100:101], v[54:55], -v[30:31]
	v_mul_f64 v[30:31], v[14:15], v[108:109]
	v_mul_f64 v[34:35], v[18:19], v[126:127]
	;; [unrolled: 1-line block ×3, first 2 shown]
	v_fma_f64 v[60:61], v[60:61], v[118:119], -v[36:37]
	v_mul_f64 v[36:37], v[40:41], v[132:133]
	v_fma_f64 v[0:1], v[56:57], v[138:139], -v[0:1]
	v_fmac_f64_e32 v[8:9], v[104:105], v[132:133]
	s_waitcnt lgkmcnt(0)
	v_fmac_f64_e32 v[30:31], v[116:117], v[110:111]
	v_fmac_f64_e32 v[34:35], v[172:173], v[128:129]
	;; [unrolled: 1-line block ×3, first 2 shown]
	v_mul_f64 v[22:23], v[152:153], v[144:145]
	v_mul_f64 v[14:15], v[14:15], v[110:111]
	;; [unrolled: 1-line block ×3, first 2 shown]
	v_fma_f64 v[36:37], v[104:105], v[130:131], -v[36:37]
	v_add_f64 v[0:1], v[52:53], -v[0:1]
	v_add_f64 v[8:9], v[4:5], -v[8:9]
	;; [unrolled: 1-line block ×3, first 2 shown]
	v_fmac_f64_e32 v[22:23], v[26:27], v[142:143]
	v_fma_f64 v[14:15], v[116:117], v[108:109], -v[14:15]
	v_fma_f64 v[18:19], v[172:173], v[126:127], -v[18:19]
	v_add_f64 v[40:41], v[60:61], -v[36:37]
	v_mul_f64 v[36:37], v[56:57], v[140:141]
	v_fma_f64 v[74:75], v[48:49], 2.0, -v[62:63]
	v_add_f64 v[48:49], v[0:1], -v[8:9]
	v_add_f64 v[106:107], v[100:101], -v[58:59]
	v_add_f64 v[22:23], v[92:93], -v[22:23]
	v_add_f64 v[18:19], v[14:15], -v[18:19]
	v_fmac_f64_e32 v[36:37], v[32:33], v[138:139]
	v_add_f64 v[26:27], v[22:23], v[18:19]
	v_add_f64 v[104:105], v[28:29], -v[36:37]
	v_fma_f64 v[110:111], v[52:53], 2.0, -v[0:1]
	v_fma_f64 v[14:15], v[14:15], 2.0, -v[18:19]
	;; [unrolled: 1-line block ×4, first 2 shown]
	v_add_f64 v[108:109], v[104:105], v[40:41]
	v_fma_f64 v[40:41], v[60:61], 2.0, -v[40:41]
	v_fma_f64 v[60:61], v[92:93], 2.0, -v[22:23]
	v_fma_f64 v[4:5], v[4:5], 2.0, -v[8:9]
	v_fma_f64 v[8:9], v[54:55], 2.0, -v[100:101]
	v_fma_f64 v[54:55], s[2:3], v[18:19], v[0:1]
	v_fma_f64 v[22:23], v[22:23], 2.0, -v[26:27]
	v_fma_f64 v[32:33], s[0:1], v[26:27], v[108:109]
	v_fmac_f64_e32 v[54:55], s[2:3], v[22:23]
	v_fma_f64 v[34:35], s[0:1], v[106:107], v[48:49]
	v_fmac_f64_e32 v[32:33], s[0:1], v[106:107]
	v_fma_f64 v[106:107], v[0:1], 2.0, -v[54:55]
	v_fma_f64 v[0:1], v[104:105], 2.0, -v[108:109]
	v_fma_f64 v[52:53], s[2:3], v[22:23], v[0:1]
	v_add_f64 v[40:41], v[110:111], -v[40:41]
	v_fma_f64 v[116:117], v[28:29], 2.0, -v[104:105]
	v_add_f64 v[14:15], v[8:9], -v[14:15]
	v_fmac_f64_e32 v[52:53], s[0:1], v[18:19]
	v_fma_f64 v[30:31], v[30:31], 2.0, -v[58:59]
	v_add_f64 v[4:5], v[116:117], -v[4:5]
	v_fma_f64 v[104:105], v[0:1], 2.0, -v[52:53]
	v_fma_f64 v[0:1], v[110:111], 2.0, -v[40:41]
	;; [unrolled: 1-line block ×3, first 2 shown]
	v_add_f64 v[92:93], v[60:61], -v[30:31]
	v_add_f64 v[28:29], v[4:5], v[14:15]
	v_add_f64 v[110:111], v[0:1], -v[8:9]
	v_fma_f64 v[56:57], v[4:5], 2.0, -v[28:29]
	v_fma_f64 v[118:119], v[0:1], 2.0, -v[110:111]
	;; [unrolled: 1-line block ×5, first 2 shown]
	v_add_f64 v[108:109], v[0:1], -v[4:5]
	s_waitcnt vmcnt(6)
	v_mul_f64 v[14:15], v[6:7], v[154:155]
	s_waitcnt vmcnt(4)
	v_mul_f64 v[4:5], v[10:11], v[158:159]
	v_fmac_f64_e32 v[14:15], v[46:47], v[156:157]
	v_fmac_f64_e32 v[4:5], v[94:95], v[160:161]
	v_add_f64 v[18:19], v[14:15], -v[4:5]
	v_mul_f64 v[4:5], v[20:21], v[164:165]
	v_fmac_f64_e32 v[34:35], s[2:3], v[26:27]
	v_fma_f64 v[26:27], v[90:91], v[162:163], -v[4:5]
	v_mul_f64 v[90:91], v[90:91], v[164:165]
	s_waitcnt vmcnt(3)
	v_mul_f64 v[8:9], v[150:151], v[168:169]
	v_mul_f64 v[4:5], v[24:25], v[168:169]
	v_fmac_f64_e32 v[90:91], v[20:21], v[162:163]
	v_fmac_f64_e32 v[8:9], v[24:25], v[166:167]
	v_mul_f64 v[6:7], v[6:7], v[156:157]
	v_fma_f64 v[38:39], v[48:49], 2.0, -v[34:35]
	v_add_f64 v[30:31], v[40:41], -v[92:93]
	v_fma_f64 v[4:5], v[150:151], v[166:167], -v[4:5]
	s_waitcnt vmcnt(1)
	v_mul_f64 v[48:49], v[12:13], v[174:175]
	v_add_f64 v[24:25], v[90:91], -v[8:9]
	v_mul_f64 v[8:9], v[12:13], v[176:177]
	v_fma_f64 v[12:13], v[46:47], v[154:155], -v[6:7]
	v_mul_f64 v[6:7], v[10:11], v[160:161]
	v_fma_f64 v[58:59], v[40:41], 2.0, -v[30:31]
	v_fma_f64 v[116:117], v[0:1], 2.0, -v[108:109]
	v_mul_f64 v[0:1], v[2:3], v[148:149]
	v_add_f64 v[40:41], v[26:27], -v[4:5]
	s_waitcnt vmcnt(0)
	v_mul_f64 v[4:5], v[16:17], v[178:179]
	v_fma_f64 v[6:7], v[94:95], v[158:159], -v[6:7]
	v_fma_f64 v[0:1], v[50:51], v[146:147], -v[0:1]
	v_fmac_f64_e32 v[48:49], v[114:115], v[176:177]
	v_fmac_f64_e32 v[4:5], v[170:171], v[180:181]
	v_fma_f64 v[20:21], v[114:115], v[174:175], -v[8:9]
	v_mul_f64 v[8:9], v[16:17], v[180:181]
	v_add_f64 v[10:11], v[12:13], -v[6:7]
	v_mul_f64 v[6:7], v[50:51], v[148:149]
	v_add_f64 v[0:1], v[102:103], -v[0:1]
	v_add_f64 v[60:61], v[48:49], -v[4:5]
	v_fma_f64 v[8:9], v[170:171], v[178:179], -v[8:9]
	v_fmac_f64_e32 v[6:7], v[2:3], v[146:147]
	v_add_f64 v[22:23], v[0:1], -v[18:19]
	v_add_f64 v[92:93], v[40:41], -v[60:61]
	;; [unrolled: 1-line block ×4, first 2 shown]
	v_fma_f64 v[4:5], s[0:1], v[92:93], v[22:23]
	v_add_f64 v[114:115], v[24:25], v[100:101]
	v_add_f64 v[50:51], v[46:47], v[10:11]
	v_fma_f64 v[94:95], v[102:103], 2.0, -v[0:1]
	v_fma_f64 v[10:11], v[12:13], 2.0, -v[10:11]
	v_fmac_f64_e32 v[4:5], s[2:3], v[114:115]
	v_add_f64 v[102:103], v[94:95], -v[10:11]
	v_fma_f64 v[90:91], v[90:91], 2.0, -v[24:25]
	v_fma_f64 v[10:11], v[48:49], 2.0, -v[60:61]
	;; [unrolled: 1-line block ×3, first 2 shown]
	v_add_f64 v[60:61], v[90:91], -v[10:11]
	v_fma_f64 v[96:97], v[96:97], 2.0, -v[46:47]
	v_fma_f64 v[10:11], v[14:15], 2.0, -v[18:19]
	v_fma_f64 v[0:1], v[0:1], 2.0, -v[22:23]
	v_fma_f64 v[22:23], v[40:41], 2.0, -v[92:93]
	v_add_f64 v[120:121], v[96:97], -v[10:11]
	v_fma_f64 v[10:11], v[20:21], 2.0, -v[100:101]
	v_fma_f64 v[20:21], s[2:3], v[22:23], v[0:1]
	v_fma_f64 v[18:19], v[24:25], 2.0, -v[114:115]
	v_fmac_f64_e32 v[20:21], s[2:3], v[18:19]
	v_fma_f64 v[24:25], v[0:1], 2.0, -v[20:21]
	v_fma_f64 v[0:1], v[46:47], 2.0, -v[50:51]
	;; [unrolled: 1-line block ×3, first 2 shown]
	v_fma_f64 v[18:19], s[2:3], v[18:19], v[0:1]
	v_add_f64 v[48:49], v[26:27], -v[10:11]
	v_fmac_f64_e32 v[18:19], s[0:1], v[22:23]
	v_fma_f64 v[22:23], v[0:1], 2.0, -v[18:19]
	v_fma_f64 v[0:1], v[94:95], 2.0, -v[102:103]
	v_fma_f64 v[26:27], v[26:27], 2.0, -v[48:49]
	v_fma_f64 v[2:3], s[0:1], v[114:115], v[50:51]
	v_add_f64 v[10:11], v[120:121], v[48:49]
	v_add_f64 v[48:49], v[0:1], -v[26:27]
	v_fmac_f64_e32 v[2:3], s[0:1], v[92:93]
	v_fma_f64 v[92:93], v[0:1], 2.0, -v[48:49]
	v_fma_f64 v[0:1], v[96:97], 2.0, -v[120:121]
	;; [unrolled: 1-line block ×3, first 2 shown]
	v_add_f64 v[46:47], v[0:1], -v[26:27]
	s_mov_b32 s2, 0xa0a0a0a1
	v_fma_f64 v[90:91], v[0:1], 2.0, -v[46:47]
	v_mul_hi_u32 v0, v184, s2
	v_lshrrev_b32_e32 v0, 5, v0
	v_mul_lo_u32 v0, v0, 51
	v_sub_u32_e32 v26, v184, v0
	v_lshl_add_u64 v[0:1], v[98:99], 4, s[6:7]
	v_lshl_add_u64 v[0:1], v[136:137], 4, v[0:1]
	v_lshlrev_b32_e32 v112, 4, v26
	v_fma_f64 v[6:7], v[50:51], 2.0, -v[2:3]
	v_add_f64 v[12:13], v[102:103], -v[60:61]
	v_lshl_add_u64 v[26:27], v[0:1], 0, v[112:113]
	s_movk_i32 s0, 0x1000
	v_fma_f64 v[16:17], v[102:103], 2.0, -v[12:13]
	v_fma_f64 v[14:15], v[120:121], 2.0, -v[10:11]
	global_store_dwordx4 v[26:27], v[90:93], off
	global_store_dwordx4 v[26:27], v[22:25], off offset:816
	global_store_dwordx4 v[26:27], v[14:17], off offset:1632
	;; [unrolled: 1-line block ×5, first 2 shown]
	v_add_co_u32_e32 v6, vcc, s0, v26
	s_movk_i32 s3, 0x198
	s_nop 0
	v_addc_co_u32_e32 v7, vcc, 0, v27, vcc
	global_store_dwordx4 v[6:7], v[10:13], off offset:800
	global_store_dwordx4 v[6:7], v[2:5], off offset:1616
	s_nop 1
	v_add_u32_e32 v2, 17, v184
	v_mul_hi_u32 v3, v2, s2
	v_lshrrev_b32_e32 v3, 5, v3
	v_mul_lo_u32 v4, v3, 51
	v_sub_u32_e32 v2, v2, v4
	v_mad_u64_u32 v[2:3], s[0:1], v3, s3, v[2:3]
	v_mov_b32_e32 v3, v113
	v_lshl_add_u64 v[4:5], v[2:3], 4, v[0:1]
	v_add_u32_e32 v112, 51, v2
	global_store_dwordx4 v[4:5], v[116:119], off
	v_lshl_add_u64 v[4:5], v[112:113], 4, v[0:1]
	v_add_u32_e32 v112, 0x66, v2
	global_store_dwordx4 v[4:5], v[104:107], off
	;; [unrolled: 3-line block ×6, first 2 shown]
	v_lshl_add_u64 v[4:5], v[112:113], 4, v[0:1]
	v_add_u32_e32 v112, 0x165, v2
	v_lshl_add_u64 v[2:3], v[112:113], 4, v[0:1]
	global_store_dwordx4 v[2:3], v[32:35], off
	v_add_u32_e32 v2, 34, v184
	v_mul_hi_u32 v3, v2, s2
	v_lshrrev_b32_e32 v3, 5, v3
	global_store_dwordx4 v[4:5], v[28:31], off
	v_mul_lo_u32 v4, v3, 51
	v_sub_u32_e32 v2, v2, v4
	v_mad_u64_u32 v[2:3], s[0:1], v3, s3, v[2:3]
	v_mov_b32_e32 v3, v113
	v_lshl_add_u64 v[4:5], v[2:3], 4, v[0:1]
	v_add_u32_e32 v112, 51, v2
	global_store_dwordx4 v[4:5], v[86:89], off
	v_lshl_add_u64 v[4:5], v[112:113], 4, v[0:1]
	v_add_u32_e32 v112, 0x66, v2
	global_store_dwordx4 v[4:5], v[82:85], off
	;; [unrolled: 3-line block ×6, first 2 shown]
	v_lshl_add_u64 v[4:5], v[112:113], 4, v[0:1]
	v_add_u32_e32 v112, 0x165, v2
	v_lshl_add_u64 v[0:1], v[112:113], 4, v[0:1]
	global_store_dwordx4 v[4:5], v[62:65], off
	global_store_dwordx4 v[0:1], v[42:45], off
.LBB0_20:
	s_endpgm
	.section	.rodata,"a",@progbits
	.p2align	6, 0x0
	.amdhsa_kernel fft_rtc_back_len408_factors_17_3_8_wgs_51_tpt_17_halfLds_dp_op_CI_CI_unitstride_sbrr_dirReg
		.amdhsa_group_segment_fixed_size 0
		.amdhsa_private_segment_fixed_size 0
		.amdhsa_kernarg_size 104
		.amdhsa_user_sgpr_count 2
		.amdhsa_user_sgpr_dispatch_ptr 0
		.amdhsa_user_sgpr_queue_ptr 0
		.amdhsa_user_sgpr_kernarg_segment_ptr 1
		.amdhsa_user_sgpr_dispatch_id 0
		.amdhsa_user_sgpr_kernarg_preload_length 0
		.amdhsa_user_sgpr_kernarg_preload_offset 0
		.amdhsa_user_sgpr_private_segment_size 0
		.amdhsa_uses_dynamic_stack 0
		.amdhsa_enable_private_segment 0
		.amdhsa_system_sgpr_workgroup_id_x 1
		.amdhsa_system_sgpr_workgroup_id_y 0
		.amdhsa_system_sgpr_workgroup_id_z 0
		.amdhsa_system_sgpr_workgroup_info 0
		.amdhsa_system_vgpr_workitem_id 0
		.amdhsa_next_free_vgpr 230
		.amdhsa_next_free_sgpr 60
		.amdhsa_accum_offset 232
		.amdhsa_reserve_vcc 1
		.amdhsa_float_round_mode_32 0
		.amdhsa_float_round_mode_16_64 0
		.amdhsa_float_denorm_mode_32 3
		.amdhsa_float_denorm_mode_16_64 3
		.amdhsa_dx10_clamp 1
		.amdhsa_ieee_mode 1
		.amdhsa_fp16_overflow 0
		.amdhsa_tg_split 0
		.amdhsa_exception_fp_ieee_invalid_op 0
		.amdhsa_exception_fp_denorm_src 0
		.amdhsa_exception_fp_ieee_div_zero 0
		.amdhsa_exception_fp_ieee_overflow 0
		.amdhsa_exception_fp_ieee_underflow 0
		.amdhsa_exception_fp_ieee_inexact 0
		.amdhsa_exception_int_div_zero 0
	.end_amdhsa_kernel
	.text
.Lfunc_end0:
	.size	fft_rtc_back_len408_factors_17_3_8_wgs_51_tpt_17_halfLds_dp_op_CI_CI_unitstride_sbrr_dirReg, .Lfunc_end0-fft_rtc_back_len408_factors_17_3_8_wgs_51_tpt_17_halfLds_dp_op_CI_CI_unitstride_sbrr_dirReg
                                        ; -- End function
	.section	.AMDGPU.csdata,"",@progbits
; Kernel info:
; codeLenInByte = 18420
; NumSgprs: 66
; NumVgprs: 230
; NumAgprs: 0
; TotalNumVgprs: 230
; ScratchSize: 0
; MemoryBound: 1
; FloatMode: 240
; IeeeMode: 1
; LDSByteSize: 0 bytes/workgroup (compile time only)
; SGPRBlocks: 8
; VGPRBlocks: 28
; NumSGPRsForWavesPerEU: 66
; NumVGPRsForWavesPerEU: 230
; AccumOffset: 232
; Occupancy: 2
; WaveLimiterHint : 1
; COMPUTE_PGM_RSRC2:SCRATCH_EN: 0
; COMPUTE_PGM_RSRC2:USER_SGPR: 2
; COMPUTE_PGM_RSRC2:TRAP_HANDLER: 0
; COMPUTE_PGM_RSRC2:TGID_X_EN: 1
; COMPUTE_PGM_RSRC2:TGID_Y_EN: 0
; COMPUTE_PGM_RSRC2:TGID_Z_EN: 0
; COMPUTE_PGM_RSRC2:TIDIG_COMP_CNT: 0
; COMPUTE_PGM_RSRC3_GFX90A:ACCUM_OFFSET: 57
; COMPUTE_PGM_RSRC3_GFX90A:TG_SPLIT: 0
	.text
	.p2alignl 6, 3212836864
	.fill 256, 4, 3212836864
	.type	__hip_cuid_da7ca2714e94d06f,@object ; @__hip_cuid_da7ca2714e94d06f
	.section	.bss,"aw",@nobits
	.globl	__hip_cuid_da7ca2714e94d06f
__hip_cuid_da7ca2714e94d06f:
	.byte	0                               ; 0x0
	.size	__hip_cuid_da7ca2714e94d06f, 1

	.ident	"AMD clang version 19.0.0git (https://github.com/RadeonOpenCompute/llvm-project roc-6.4.0 25133 c7fe45cf4b819c5991fe208aaa96edf142730f1d)"
	.section	".note.GNU-stack","",@progbits
	.addrsig
	.addrsig_sym __hip_cuid_da7ca2714e94d06f
	.amdgpu_metadata
---
amdhsa.kernels:
  - .agpr_count:     0
    .args:
      - .actual_access:  read_only
        .address_space:  global
        .offset:         0
        .size:           8
        .value_kind:     global_buffer
      - .offset:         8
        .size:           8
        .value_kind:     by_value
      - .actual_access:  read_only
        .address_space:  global
        .offset:         16
        .size:           8
        .value_kind:     global_buffer
      - .actual_access:  read_only
        .address_space:  global
        .offset:         24
        .size:           8
        .value_kind:     global_buffer
      - .actual_access:  read_only
        .address_space:  global
        .offset:         32
        .size:           8
        .value_kind:     global_buffer
      - .offset:         40
        .size:           8
        .value_kind:     by_value
      - .actual_access:  read_only
        .address_space:  global
        .offset:         48
        .size:           8
        .value_kind:     global_buffer
      - .actual_access:  read_only
        .address_space:  global
        .offset:         56
        .size:           8
        .value_kind:     global_buffer
      - .offset:         64
        .size:           4
        .value_kind:     by_value
      - .actual_access:  read_only
        .address_space:  global
        .offset:         72
        .size:           8
        .value_kind:     global_buffer
      - .actual_access:  read_only
        .address_space:  global
        .offset:         80
        .size:           8
        .value_kind:     global_buffer
      - .actual_access:  read_only
        .address_space:  global
        .offset:         88
        .size:           8
        .value_kind:     global_buffer
      - .actual_access:  write_only
        .address_space:  global
        .offset:         96
        .size:           8
        .value_kind:     global_buffer
    .group_segment_fixed_size: 0
    .kernarg_segment_align: 8
    .kernarg_segment_size: 104
    .language:       OpenCL C
    .language_version:
      - 2
      - 0
    .max_flat_workgroup_size: 51
    .name:           fft_rtc_back_len408_factors_17_3_8_wgs_51_tpt_17_halfLds_dp_op_CI_CI_unitstride_sbrr_dirReg
    .private_segment_fixed_size: 0
    .sgpr_count:     66
    .sgpr_spill_count: 0
    .symbol:         fft_rtc_back_len408_factors_17_3_8_wgs_51_tpt_17_halfLds_dp_op_CI_CI_unitstride_sbrr_dirReg.kd
    .uniform_work_group_size: 1
    .uses_dynamic_stack: false
    .vgpr_count:     230
    .vgpr_spill_count: 0
    .wavefront_size: 64
amdhsa.target:   amdgcn-amd-amdhsa--gfx950
amdhsa.version:
  - 1
  - 2
...

	.end_amdgpu_metadata
